;; amdgpu-corpus repo=ROCm/rocFFT kind=compiled arch=gfx1030 opt=O3
	.text
	.amdgcn_target "amdgcn-amd-amdhsa--gfx1030"
	.amdhsa_code_object_version 6
	.protected	bluestein_single_back_len1105_dim1_dp_op_CI_CI ; -- Begin function bluestein_single_back_len1105_dim1_dp_op_CI_CI
	.globl	bluestein_single_back_len1105_dim1_dp_op_CI_CI
	.p2align	8
	.type	bluestein_single_back_len1105_dim1_dp_op_CI_CI,@function
bluestein_single_back_len1105_dim1_dp_op_CI_CI: ; @bluestein_single_back_len1105_dim1_dp_op_CI_CI
; %bb.0:
	s_mov_b64 s[62:63], s[2:3]
	s_mov_b64 s[60:61], s[0:1]
	s_load_dwordx4 s[0:3], s[4:5], 0x28
	v_mul_u32_u24_e32 v1, 0x304, v0
	s_add_u32 s60, s60, s7
	s_addc_u32 s61, s61, 0
	v_lshrrev_b32_e32 v1, 16, v1
	v_mad_u64_u32 v[3:4], null, s6, 3, v[1:2]
	v_mov_b32_e32 v4, 0
	s_waitcnt lgkmcnt(0)
	v_cmp_gt_u64_e32 vcc_lo, s[0:1], v[3:4]
	s_and_saveexec_b32 s0, vcc_lo
	s_cbranch_execz .LBB0_23
; %bb.1:
	v_mul_hi_u32 v2, 0xaaaaaaab, v3
	v_mul_lo_u16 v1, 0x55, v1
	s_clause 0x1
	s_load_dwordx2 s[12:13], s[4:5], 0x0
	s_load_dwordx2 s[14:15], s[4:5], 0x38
	v_sub_nc_u16 v0, v0, v1
	v_mov_b32_e32 v1, v3
	v_lshrrev_b32_e32 v2, 1, v2
	v_cmp_gt_u16_e32 vcc_lo, 0x41, v0
	v_lshl_add_u32 v2, v2, 1, v2
	buffer_store_dword v1, off, s[60:63], 0 offset:28 ; 4-byte Folded Spill
	buffer_store_dword v2, off, s[60:63], 0 offset:32 ; 4-byte Folded Spill
	v_sub_nc_u32_e32 v1, v3, v2
	v_and_b32_e32 v2, 0xffff, v0
	v_mul_u32_u24_e32 v1, 0x451, v1
	buffer_store_dword v2, off, s[60:63], 0 ; 4-byte Folded Spill
	v_lshlrev_b32_e32 v0, 4, v1
	buffer_store_dword v1, off, s[60:63], 0 offset:4 ; 4-byte Folded Spill
	buffer_store_dword v0, off, s[60:63], 0 offset:8 ; 4-byte Folded Spill
	s_and_saveexec_b32 s1, vcc_lo
	s_cbranch_execz .LBB0_3
; %bb.2:
	buffer_load_dword v149, off, s[60:63], 0 ; 4-byte Folded Reload
	s_load_dwordx2 s[6:7], s[4:5], 0x18
	s_waitcnt lgkmcnt(0)
	s_load_dwordx4 s[8:11], s[6:7], 0x0
	s_waitcnt lgkmcnt(0)
	s_mul_i32 s6, s9, 0x410
	s_mul_hi_u32 s7, s8, 0x410
	s_add_i32 s7, s7, s6
	s_waitcnt vmcnt(0)
	v_lshlrev_b32_e32 v148, 4, v149
	v_mad_u64_u32 v[40:41], null, s8, v149, 0
	s_clause 0x1
	global_load_dwordx4 v[0:3], v148, s[12:13]
	global_load_dwordx4 v[4:7], v148, s[12:13] offset:1040
	s_clause 0x1
	buffer_load_dword v8, off, s[60:63], 0 offset:28
	buffer_load_dword v9, off, s[60:63], 0 offset:32
	v_add_co_u32 v10, s0, s12, v148
	v_add_co_ci_u32_e64 v11, null, s13, 0, s0
	s_waitcnt vmcnt(0)
	v_mov_b32_e32 v9, v41
	v_add_co_u32 v12, s0, 0x800, v10
	v_add_co_ci_u32_e64 v13, s0, 0, v11, s0
	v_add_co_u32 v20, s0, 0x1000, v10
	v_add_co_ci_u32_e64 v21, s0, 0, v11, s0
	;; [unrolled: 2-line block ×3, first 2 shown]
	v_add_co_u32 v36, s0, 0x2000, v10
	v_mad_u64_u32 v[34:35], null, s9, v149, v[9:10]
	v_add_co_ci_u32_e64 v37, s0, 0, v11, s0
	v_add_co_u32 v44, s0, 0x2800, v10
	v_add_co_ci_u32_e64 v45, s0, 0, v11, s0
	v_add_co_u32 v52, s0, 0x3000, v10
	;; [unrolled: 2-line block ×3, first 2 shown]
	v_mov_b32_e32 v41, v34
	v_add_co_ci_u32_e64 v121, s0, 0, v11, s0
	v_add_co_u32 v128, s0, 0x4000, v10
	v_add_co_ci_u32_e64 v129, s0, 0, v11, s0
	v_lshlrev_b64 v[40:41], 4, v[40:41]
	v_mov_b32_e32 v14, v8
	v_mad_u64_u32 v[32:33], null, s10, v14, 0
	v_mov_b32_e32 v8, v33
	v_mad_u64_u32 v[16:17], null, s11, v14, v[8:9]
	s_clause 0x1
	global_load_dwordx4 v[8:11], v[12:13], off offset:32
	global_load_dwordx4 v[12:15], v[12:13], off offset:1072
	v_mov_b32_e32 v33, v16
	s_clause 0x3
	global_load_dwordx4 v[16:19], v[20:21], off offset:64
	global_load_dwordx4 v[20:23], v[20:21], off offset:1104
	;; [unrolled: 1-line block ×4, first 2 shown]
	v_lshlrev_b64 v[42:43], 4, v[32:33]
	s_clause 0x1
	global_load_dwordx4 v[32:35], v[36:37], off offset:128
	global_load_dwordx4 v[36:39], v[36:37], off offset:1168
	v_add_co_u32 v42, s0, s2, v42
	v_add_co_ci_u32_e64 v43, s0, s3, v43, s0
	s_mul_i32 s2, s8, 0x410
	v_add_co_u32 v56, s0, v42, v40
	v_add_co_ci_u32_e64 v57, s0, v43, v41, s0
	s_clause 0x1
	global_load_dwordx4 v[40:43], v[44:45], off offset:160
	global_load_dwordx4 v[44:47], v[44:45], off offset:1200
	v_add_co_u32 v60, s0, v56, s2
	v_add_co_ci_u32_e64 v61, s0, s7, v57, s0
	s_clause 0x1
	global_load_dwordx4 v[48:51], v[52:53], off offset:192
	global_load_dwordx4 v[52:55], v[52:53], off offset:1232
	v_add_co_u32 v64, s0, v60, s2
	v_add_co_ci_u32_e64 v65, s0, s7, v61, s0
	s_clause 0x1
	global_load_dwordx4 v[56:59], v[56:57], off
	global_load_dwordx4 v[60:63], v[60:61], off
	v_add_co_u32 v68, s0, v64, s2
	v_add_co_ci_u32_e64 v69, s0, s7, v65, s0
	global_load_dwordx4 v[64:67], v[64:65], off
	v_add_co_u32 v72, s0, v68, s2
	v_add_co_ci_u32_e64 v73, s0, s7, v69, s0
	v_add_co_u32 v76, s0, v72, s2
	v_add_co_ci_u32_e64 v77, s0, s7, v73, s0
	s_clause 0x1
	global_load_dwordx4 v[68:71], v[68:69], off
	global_load_dwordx4 v[72:75], v[72:73], off
	v_add_co_u32 v80, s0, v76, s2
	v_add_co_ci_u32_e64 v81, s0, s7, v77, s0
	global_load_dwordx4 v[76:79], v[76:77], off
	v_add_co_u32 v84, s0, v80, s2
	v_add_co_ci_u32_e64 v85, s0, s7, v81, s0
	;; [unrolled: 3-line block ×11, first 2 shown]
	s_clause 0x1
	global_load_dwordx4 v[116:119], v[120:121], off offset:224
	global_load_dwordx4 v[120:123], v[120:121], off offset:1264
	global_load_dwordx4 v[124:127], v[124:125], off
	global_load_dwordx4 v[128:131], v[128:129], off offset:256
	global_load_dwordx4 v[132:135], v[132:133], off
	s_waitcnt vmcnt(19)
	v_mul_f64 v[136:137], v[58:59], v[2:3]
	v_mul_f64 v[2:3], v[56:57], v[2:3]
	s_waitcnt vmcnt(18)
	v_mul_f64 v[138:139], v[62:63], v[6:7]
	v_mul_f64 v[6:7], v[60:61], v[6:7]
	;; [unrolled: 3-line block ×6, first 2 shown]
	v_fma_f64 v[56:57], v[56:57], v[0:1], v[136:137]
	v_fma_f64 v[58:59], v[58:59], v[0:1], -v[2:3]
	v_fma_f64 v[0:1], v[60:61], v[4:5], v[138:139]
	v_fma_f64 v[2:3], v[62:63], v[4:5], -v[6:7]
	s_waitcnt vmcnt(13)
	v_mul_f64 v[60:61], v[82:83], v[26:27]
	v_mul_f64 v[26:27], v[80:81], v[26:27]
	v_fma_f64 v[4:5], v[64:65], v[8:9], v[140:141]
	v_fma_f64 v[6:7], v[66:67], v[8:9], -v[10:11]
	s_waitcnt vmcnt(12)
	v_mul_f64 v[62:63], v[86:87], v[30:31]
	v_mul_f64 v[30:31], v[84:85], v[30:31]
	s_waitcnt vmcnt(11)
	v_mul_f64 v[64:65], v[90:91], v[34:35]
	v_fma_f64 v[8:9], v[68:69], v[12:13], v[142:143]
	v_mul_f64 v[34:35], v[88:89], v[34:35]
	v_fma_f64 v[10:11], v[70:71], v[12:13], -v[14:15]
	v_fma_f64 v[12:13], v[72:73], v[16:17], v[144:145]
	s_waitcnt vmcnt(10)
	v_mul_f64 v[66:67], v[94:95], v[38:39]
	v_mul_f64 v[38:39], v[92:93], v[38:39]
	v_fma_f64 v[14:15], v[74:75], v[16:17], -v[18:19]
	v_fma_f64 v[16:17], v[76:77], v[20:21], v[146:147]
	v_fma_f64 v[18:19], v[78:79], v[20:21], -v[22:23]
	s_waitcnt vmcnt(9)
	v_mul_f64 v[68:69], v[98:99], v[42:43]
	v_mul_f64 v[42:43], v[96:97], v[42:43]
	v_fma_f64 v[20:21], v[80:81], v[24:25], v[60:61]
	v_fma_f64 v[22:23], v[82:83], v[24:25], -v[26:27]
	s_waitcnt vmcnt(8)
	v_mul_f64 v[70:71], v[102:103], v[46:47]
	v_mul_f64 v[46:47], v[100:101], v[46:47]
	;; [unrolled: 5-line block ×4, first 2 shown]
	v_fma_f64 v[32:33], v[92:93], v[36:37], v[66:67]
	v_fma_f64 v[34:35], v[94:95], v[36:37], -v[38:39]
	s_waitcnt vmcnt(4)
	v_mul_f64 v[76:77], v[114:115], v[118:119]
	v_fma_f64 v[36:37], v[96:97], v[40:41], v[68:69]
	buffer_load_dword v69, off, s[60:63], 0 offset:8 ; 4-byte Folded Reload
	v_mul_f64 v[78:79], v[112:113], v[118:119]
	s_waitcnt vmcnt(3)
	v_mul_f64 v[118:119], v[126:127], v[122:123]
	v_mul_f64 v[122:123], v[124:125], v[122:123]
	s_waitcnt vmcnt(1)
	v_mul_f64 v[136:137], v[134:135], v[130:131]
	v_mul_f64 v[130:131], v[132:133], v[130:131]
	v_fma_f64 v[38:39], v[98:99], v[40:41], -v[42:43]
	v_fma_f64 v[40:41], v[100:101], v[44:45], v[70:71]
	v_fma_f64 v[42:43], v[102:103], v[44:45], -v[46:47]
	v_fma_f64 v[44:45], v[104:105], v[48:49], v[72:73]
	;; [unrolled: 2-line block ×6, first 2 shown]
	v_fma_f64 v[66:67], v[134:135], v[128:129], -v[130:131]
	s_waitcnt vmcnt(0)
	v_lshl_add_u32 v68, v149, 4, v69
	v_add_nc_u32_e32 v69, v69, v148
	ds_write_b128 v68, v[56:59]
	ds_write_b128 v69, v[0:3] offset:1040
	ds_write_b128 v69, v[4:7] offset:2080
	;; [unrolled: 1-line block ×16, first 2 shown]
.LBB0_3:
	s_or_b32 exec_lo, exec_lo, s1
	s_clause 0x1
	s_load_dwordx2 s[0:1], s[4:5], 0x20
	s_load_dwordx2 s[2:3], s[4:5], 0x8
	s_waitcnt lgkmcnt(0)
	s_waitcnt_vscnt null, 0x0
	s_barrier
	buffer_gl0_inv
                                        ; implicit-def: $vgpr8_vgpr9
                                        ; implicit-def: $vgpr36_vgpr37
                                        ; implicit-def: $vgpr44_vgpr45
                                        ; implicit-def: $vgpr48_vgpr49
                                        ; implicit-def: $vgpr52_vgpr53
                                        ; implicit-def: $vgpr60_vgpr61
                                        ; implicit-def: $vgpr64_vgpr65
                                        ; implicit-def: $vgpr68_vgpr69
                                        ; implicit-def: $vgpr72_vgpr73
                                        ; implicit-def: $vgpr76_vgpr77
                                        ; implicit-def: $vgpr56_vgpr57
                                        ; implicit-def: $vgpr40_vgpr41
                                        ; implicit-def: $vgpr32_vgpr33
                                        ; implicit-def: $vgpr28_vgpr29
                                        ; implicit-def: $vgpr20_vgpr21
                                        ; implicit-def: $vgpr16_vgpr17
                                        ; implicit-def: $vgpr12_vgpr13
	s_and_saveexec_b32 s4, vcc_lo
	s_cbranch_execz .LBB0_5
; %bb.4:
	s_clause 0x1
	buffer_load_dword v0, off, s[60:63], 0
	buffer_load_dword v1, off, s[60:63], 0 offset:4
	s_waitcnt vmcnt(1)
	v_lshlrev_b32_e32 v0, 4, v0
	s_waitcnt vmcnt(0)
	v_lshl_add_u32 v0, v1, 4, v0
	ds_read_b128 v[8:11], v0
	ds_read_b128 v[36:39], v0 offset:1040
	ds_read_b128 v[44:47], v0 offset:2080
	ds_read_b128 v[48:51], v0 offset:3120
	ds_read_b128 v[52:55], v0 offset:4160
	ds_read_b128 v[60:63], v0 offset:5200
	ds_read_b128 v[64:67], v0 offset:6240
	ds_read_b128 v[68:71], v0 offset:7280
	ds_read_b128 v[72:75], v0 offset:8320
	ds_read_b128 v[76:79], v0 offset:9360
	ds_read_b128 v[56:59], v0 offset:10400
	ds_read_b128 v[40:43], v0 offset:11440
	ds_read_b128 v[32:35], v0 offset:12480
	ds_read_b128 v[28:31], v0 offset:13520
	ds_read_b128 v[20:23], v0 offset:14560
	ds_read_b128 v[16:19], v0 offset:15600
	ds_read_b128 v[12:15], v0 offset:16640
.LBB0_5:
	s_or_b32 exec_lo, exec_lo, s4
	s_waitcnt lgkmcnt(0)
	v_add_f64 v[142:143], v[38:39], -v[14:15]
	s_mov_b32 s4, 0x5d8e7cdc
	s_mov_b32 s5, 0xbfd71e95
	v_add_f64 v[82:83], v[44:45], -v[16:17]
	s_mov_b32 s10, 0x2a9d6da3
	s_mov_b32 s11, 0xbfe58eea
	v_add_f64 v[92:93], v[50:51], -v[22:23]
	v_add_f64 v[88:89], v[48:49], -v[20:21]
	s_mov_b32 s8, 0x7c9e640b
	s_mov_b32 s9, 0xbfeca52d
	v_add_f64 v[100:101], v[54:55], -v[30:31]
	;; [unrolled: 4-line block ×3, first 2 shown]
	v_add_f64 v[140:141], v[36:37], v[12:13]
	v_add_f64 v[86:87], v[46:47], -v[18:19]
	v_add_f64 v[195:196], v[38:39], v[14:15]
	s_mov_b32 s6, 0x370991
	s_mov_b32 s7, 0x3fedd6d0
	v_add_f64 v[80:81], v[44:45], v[16:17]
	v_add_f64 v[94:95], v[46:47], v[18:19]
	v_mul_f64 v[0:1], v[142:143], s[4:5]
	s_mov_b32 s16, 0x75d4884
	s_mov_b32 s17, 0x3fe7a5f6
	v_mul_f64 v[6:7], v[82:83], s[10:11]
	v_add_f64 v[102:103], v[50:51], v[22:23]
	s_mov_b32 s18, 0x2b2883cd
	v_mul_f64 v[24:25], v[92:93], s[8:9]
	v_mul_f64 v[98:99], v[88:89], s[8:9]
	s_mov_b32 s19, 0x3fdc86fa
	v_add_f64 v[120:121], v[54:55], v[30:31]
	v_mul_f64 v[26:27], v[100:101], s[20:21]
	v_mul_f64 v[104:105], v[96:97], s[20:21]
	s_mov_b32 s22, 0x3259b75e
	s_mov_b32 s23, 0x3fb79ee6
	v_mul_f64 v[205:206], v[201:202], s[4:5]
	v_add_f64 v[116:117], v[62:63], -v[34:35]
	v_mul_f64 v[170:171], v[86:87], s[10:11]
	s_mov_b32 s28, 0x923c349f
	s_mov_b32 s29, 0x3feec746
	;; [unrolled: 1-line block ×4, first 2 shown]
	v_add_f64 v[84:85], v[48:49], v[20:21]
	buffer_store_dword v0, off, s[60:63], 0 offset:116 ; 4-byte Folded Spill
	buffer_store_dword v1, off, s[60:63], 0 offset:120 ; 4-byte Folded Spill
	;; [unrolled: 1-line block ×12, first 2 shown]
	v_add_f64 v[90:91], v[52:53], v[28:29]
	v_add_f64 v[112:113], v[60:61], -v[32:33]
	v_fma_f64 v[2:3], v[195:196], s[6:7], -v[205:206]
	s_mov_b32 s24, 0xc61f0d01
	v_fma_f64 v[4:5], v[80:81], s[16:17], v[170:171]
	s_mov_b32 s25, 0xbfd183b1
	v_add_f64 v[138:139], v[62:63], v[34:35]
	v_add_f64 v[114:115], v[66:67], -v[42:43]
	s_mov_b32 s34, 0x6c9a05f6
	s_mov_b32 s35, 0xbfe9895b
	v_add_f64 v[108:109], v[64:65], v[40:41]
	v_add_f64 v[122:123], v[64:65], -v[40:41]
	s_mov_b32 s30, 0x6ed5f1bb
	;; [unrolled: 4-line block ×3, first 2 shown]
	s_mov_b32 s43, 0x3fe0d888
	s_mov_b32 s45, 0xbfe0d888
	;; [unrolled: 1-line block ×3, first 2 shown]
	v_add_f64 v[110:111], v[68:69], v[56:57]
	v_add_f64 v[128:129], v[68:69], -v[56:57]
	s_mov_b32 s40, 0x910ea3b9
	v_mul_f64 v[189:190], v[112:113], s[26:27]
	v_add_f64 v[2:3], v[10:11], v[2:3]
	s_mov_b32 s41, 0xbfeb34fa
	v_add_f64 v[134:135], v[70:71], v[58:59]
	v_add_f64 v[132:133], v[74:75], -v[78:79]
	s_mov_b32 s38, 0xacd6c6b4
	v_mul_f64 v[185:186], v[114:115], s[34:35]
	s_mov_b32 s39, 0xbfc7851a
	v_add_f64 v[118:119], v[72:73], v[76:77]
	v_add_f64 v[130:131], v[72:73], -v[76:77]
	v_mul_f64 v[209:210], v[122:123], s[34:35]
	s_mov_b32 s36, 0x7faef3
	s_mov_b32 s37, 0xbfef7484
	v_add_f64 v[136:137], v[74:75], v[78:79]
	v_mul_f64 v[207:208], v[124:125], s[44:45]
	v_mul_f64 v[154:155], v[142:143], s[10:11]
	;; [unrolled: 1-line block ×15, first 2 shown]
	s_mov_b32 s47, 0x3feca52d
	s_mov_b32 s46, s8
	v_mul_f64 v[219:220], v[130:131], s[38:39]
	v_mul_f64 v[229:230], v[124:125], s[46:47]
	;; [unrolled: 1-line block ×3, first 2 shown]
	s_mov_b32 s49, 0x3fd71e95
	s_mov_b32 s48, s4
	v_mul_f64 v[158:159], v[142:143], s[8:9]
	v_mul_f64 v[239:240], v[132:133], s[48:49]
	;; [unrolled: 1-line block ×6, first 2 shown]
	s_mov_b32 s51, 0x3fc7851a
	s_mov_b32 s50, s38
	v_mul_f64 v[247:248], v[100:101], s[28:29]
	v_mul_f64 v[245:246], v[92:93], s[50:51]
	;; [unrolled: 1-line block ×4, first 2 shown]
	s_mov_b32 s53, 0x3fe58eea
	s_mov_b32 s52, s10
	v_mul_f64 v[144:145], v[114:115], s[4:5]
	v_mul_f64 v[253:254], v[116:117], s[52:53]
	;; [unrolled: 1-line block ×11, first 2 shown]
	s_mov_b32 s55, 0x3fe9895b
	s_mov_b32 s54, s34
	v_mul_f64 v[197:198], v[128:129], s[54:55]
	v_fma_f64 v[168:169], v[94:95], s[36:37], -v[178:179]
	v_fma_f64 v[0:1], v[140:141], s[6:7], v[0:1]
	v_fma_f64 v[6:7], v[94:95], s[16:17], -v[6:7]
	v_fma_f64 v[24:25], v[84:85], s[18:19], v[24:25]
	v_add_f64 v[0:1], v[8:9], v[0:1]
	v_add_f64 v[2:3], v[6:7], v[2:3]
	v_fma_f64 v[6:7], v[90:91], s[22:23], v[26:27]
	v_fma_f64 v[26:27], v[80:81], s[30:31], v[241:242]
	v_add_f64 v[0:1], v[4:5], v[0:1]
	v_fma_f64 v[4:5], v[102:103], s[18:19], -v[98:99]
	v_add_f64 v[98:99], v[60:61], v[32:33]
	v_add_f64 v[0:1], v[24:25], v[0:1]
	;; [unrolled: 1-line block ×3, first 2 shown]
	v_fma_f64 v[4:5], v[120:121], s[22:23], -v[104:105]
	v_fma_f64 v[24:25], v[94:95], s[22:23], -v[223:224]
	v_fma_f64 v[104:105], v[94:95], s[30:31], -v[251:252]
	v_add_f64 v[0:1], v[6:7], v[0:1]
	v_fma_f64 v[6:7], v[80:81], s[22:23], v[215:216]
	v_add_f64 v[2:3], v[4:5], v[2:3]
	v_mul_f64 v[4:5], v[116:117], s[26:27]
	buffer_store_dword v4, off, s[60:63], 0 offset:100 ; 4-byte Folded Spill
	buffer_store_dword v5, off, s[60:63], 0 offset:104 ; 4-byte Folded Spill
	v_fma_f64 v[4:5], v[98:99], s[24:25], v[4:5]
	v_add_f64 v[0:1], v[4:5], v[0:1]
	v_fma_f64 v[4:5], v[138:139], s[24:25], -v[189:190]
	v_add_f64 v[2:3], v[4:5], v[2:3]
	v_fma_f64 v[4:5], v[108:109], s[30:31], v[185:186]
	v_add_f64 v[0:1], v[4:5], v[0:1]
	v_fma_f64 v[4:5], v[126:127], s[30:31], -v[209:210]
	v_add_f64 v[2:3], v[4:5], v[2:3]
	;; [unrolled: 4-line block ×4, first 2 shown]
	v_fma_f64 v[4:5], v[140:141], s[16:17], v[154:155]
	v_add_f64 v[4:5], v[8:9], v[4:5]
	v_add_f64 v[4:5], v[6:7], v[4:5]
	v_fma_f64 v[6:7], v[195:196], s[16:17], -v[156:157]
	v_add_f64 v[6:7], v[10:11], v[6:7]
	v_add_f64 v[6:7], v[24:25], v[6:7]
	v_fma_f64 v[24:25], v[84:85], s[30:31], v[217:218]
	v_add_f64 v[4:5], v[24:25], v[4:5]
	v_fma_f64 v[24:25], v[102:103], s[30:31], -v[231:232]
	v_add_f64 v[6:7], v[24:25], v[6:7]
	v_fma_f64 v[24:25], v[90:91], s[36:37], v[221:222]
	v_add_f64 v[4:5], v[24:25], v[4:5]
	v_fma_f64 v[24:25], v[120:121], s[36:37], -v[233:234]
	;; [unrolled: 4-line block ×6, first 2 shown]
	v_add_f64 v[6:7], v[24:25], v[6:7]
	v_fma_f64 v[24:25], v[140:141], s[18:19], v[158:159]
	v_add_f64 v[24:25], v[8:9], v[24:25]
	v_add_f64 v[24:25], v[26:27], v[24:25]
	v_fma_f64 v[26:27], v[195:196], s[18:19], -v[160:161]
	v_add_f64 v[26:27], v[10:11], v[26:27]
	v_add_f64 v[26:27], v[104:105], v[26:27]
	v_fma_f64 v[104:105], v[84:85], s[36:37], v[245:246]
	v_add_f64 v[24:25], v[104:105], v[24:25]
	v_fma_f64 v[104:105], v[102:103], s[36:37], -v[146:147]
	v_add_f64 v[26:27], v[104:105], v[26:27]
	v_fma_f64 v[104:105], v[90:91], s[24:25], v[247:248]
	v_add_f64 v[24:25], v[104:105], v[24:25]
	v_fma_f64 v[104:105], v[120:121], s[24:25], -v[150:151]
	;; [unrolled: 4-line block ×4, first 2 shown]
	v_add_f64 v[26:27], v[104:105], v[26:27]
	v_mul_f64 v[104:105], v[124:125], s[20:21]
	buffer_store_dword v104, off, s[60:63], 0 offset:148 ; 4-byte Folded Spill
	buffer_store_dword v105, off, s[60:63], 0 offset:152 ; 4-byte Folded Spill
	v_fma_f64 v[104:105], v[110:111], s[22:23], v[104:105]
	v_add_f64 v[24:25], v[104:105], v[24:25]
	v_mul_f64 v[104:105], v[128:129], s[20:21]
	buffer_store_dword v104, off, s[60:63], 0 offset:164 ; 4-byte Folded Spill
	buffer_store_dword v105, off, s[60:63], 0 offset:168 ; 4-byte Folded Spill
	v_fma_f64 v[104:105], v[134:135], s[22:23], -v[104:105]
	v_add_f64 v[26:27], v[104:105], v[26:27]
	v_mul_f64 v[104:105], v[132:133], s[44:45]
	buffer_store_dword v104, off, s[60:63], 0 offset:156 ; 4-byte Folded Spill
	buffer_store_dword v105, off, s[60:63], 0 offset:160 ; 4-byte Folded Spill
	v_fma_f64 v[104:105], v[118:119], s[40:41], v[104:105]
	v_add_f64 v[104:105], v[104:105], v[24:25]
	v_mul_f64 v[24:25], v[130:131], s[44:45]
	buffer_store_dword v24, off, s[60:63], 0 offset:172 ; 4-byte Folded Spill
	buffer_store_dword v25, off, s[60:63], 0 offset:176 ; 4-byte Folded Spill
	v_fma_f64 v[24:25], v[136:137], s[40:41], -v[24:25]
	v_add_f64 v[106:107], v[24:25], v[26:27]
	v_mul_f64 v[26:27], v[86:87], s[38:39]
	buffer_store_dword v26, off, s[60:63], 0 offset:132 ; 4-byte Folded Spill
	buffer_store_dword v27, off, s[60:63], 0 offset:136 ; 4-byte Folded Spill
	v_fma_f64 v[24:25], v[140:141], s[22:23], v[162:163]
	s_waitcnt_vscnt null, 0x0
	s_barrier
	buffer_gl0_inv
	v_add_f64 v[24:25], v[8:9], v[24:25]
	v_fma_f64 v[26:27], v[80:81], s[36:37], v[26:27]
	v_add_f64 v[24:25], v[26:27], v[24:25]
	v_fma_f64 v[26:27], v[195:196], s[22:23], -v[164:165]
	v_add_f64 v[26:27], v[10:11], v[26:27]
	v_add_f64 v[26:27], v[168:169], v[26:27]
	v_mul_f64 v[168:169], v[92:93], s[28:29]
	v_fma_f64 v[172:173], v[84:85], s[24:25], v[168:169]
	v_add_f64 v[24:25], v[172:173], v[24:25]
	v_fma_f64 v[172:173], v[102:103], s[24:25], -v[187:188]
	v_add_f64 v[26:27], v[172:173], v[26:27]
	v_mul_f64 v[172:173], v[100:101], s[48:49]
	v_fma_f64 v[174:175], v[90:91], s[6:7], v[172:173]
	v_add_f64 v[24:25], v[174:175], v[24:25]
	v_fma_f64 v[174:175], v[120:121], s[6:7], -v[203:204]
	;; [unrolled: 5-line block ×5, first 2 shown]
	v_add_f64 v[26:27], v[183:184], v[26:27]
	v_mul_f64 v[182:183], v[132:133], s[52:53]
	v_fma_f64 v[199:200], v[118:119], s[16:17], v[182:183]
	v_add_f64 v[24:25], v[199:200], v[24:25]
	v_mul_f64 v[199:200], v[130:131], s[52:53]
	v_fma_f64 v[166:167], v[136:137], s[16:17], -v[199:200]
	v_add_f64 v[26:27], v[166:167], v[26:27]
	s_and_saveexec_b32 s33, vcc_lo
	s_cbranch_execz .LBB0_7
; %bb.6:
	v_add_f64 v[38:39], v[10:11], v[38:39]
	v_add_f64 v[36:37], v[8:9], v[36:37]
	s_mov_b32 s57, 0x3fefdd0d
	s_mov_b32 s56, s20
	v_mul_f64 v[166:167], v[102:103], s[18:19]
	v_add_f64 v[38:39], v[38:39], v[46:47]
	v_add_f64 v[36:37], v[36:37], v[44:45]
	;; [unrolled: 1-line block ×6, first 2 shown]
	v_mul_f64 v[54:55], v[142:143], s[34:35]
	v_mul_f64 v[52:53], v[142:143], s[44:45]
	v_add_f64 v[38:39], v[38:39], v[62:63]
	v_add_f64 v[36:37], v[36:37], v[60:61]
	v_fma_f64 v[62:63], v[140:141], s[30:31], v[54:55]
	v_fma_f64 v[60:61], v[140:141], s[40:41], v[52:53]
	v_fma_f64 v[52:53], v[140:141], s[40:41], -v[52:53]
	v_fma_f64 v[54:55], v[140:141], s[30:31], -v[54:55]
	v_add_f64 v[38:39], v[38:39], v[66:67]
	v_add_f64 v[36:37], v[36:37], v[64:65]
	v_mul_f64 v[66:67], v[140:141], s[6:7]
	v_add_f64 v[60:61], v[8:9], v[60:61]
	v_add_f64 v[52:53], v[8:9], v[52:53]
	;; [unrolled: 1-line block ×9, first 2 shown]
	v_mul_f64 v[78:79], v[100:101], s[52:53]
	v_add_f64 v[38:39], v[38:39], v[58:59]
	v_add_f64 v[36:37], v[36:37], v[56:57]
	v_mul_f64 v[56:57], v[142:143], s[26:27]
	v_add_f64 v[38:39], v[38:39], v[42:43]
	v_add_f64 v[36:37], v[36:37], v[40:41]
	v_fma_f64 v[64:65], v[140:141], s[24:25], v[56:57]
	v_fma_f64 v[56:57], v[140:141], s[24:25], -v[56:57]
	v_add_f64 v[34:35], v[38:39], v[34:35]
	v_add_f64 v[32:33], v[36:37], v[32:33]
	;; [unrolled: 1-line block ×6, first 2 shown]
	v_mul_f64 v[28:29], v[195:196], s[30:31]
	v_add_f64 v[18:19], v[22:23], v[18:19]
	v_add_f64 v[16:17], v[20:21], v[16:17]
	v_fma_f64 v[30:31], v[201:202], s[54:55], v[28:29]
	v_fma_f64 v[32:33], v[201:202], s[34:35], v[28:29]
	v_mul_f64 v[28:29], v[195:196], s[24:25]
	v_mul_f64 v[20:21], v[195:196], s[40:41]
	v_add_f64 v[14:15], v[18:19], v[14:15]
	v_add_f64 v[12:13], v[16:17], v[12:13]
	v_mul_f64 v[16:17], v[195:196], s[36:37]
	v_add_f64 v[30:31], v[10:11], v[30:31]
	v_fma_f64 v[34:35], v[201:202], s[28:29], v[28:29]
	v_fma_f64 v[36:37], v[201:202], s[26:27], v[28:29]
	v_mul_f64 v[28:29], v[195:196], s[22:23]
	v_fma_f64 v[22:23], v[201:202], s[42:43], v[20:21]
	v_fma_f64 v[20:21], v[201:202], s[44:45], v[20:21]
	v_add_f64 v[32:33], v[10:11], v[32:33]
	buffer_store_dword v12, off, s[60:63], 0 offset:180 ; 4-byte Folded Spill
	buffer_store_dword v13, off, s[60:63], 0 offset:184 ; 4-byte Folded Spill
	buffer_store_dword v14, off, s[60:63], 0 offset:188 ; 4-byte Folded Spill
	buffer_store_dword v15, off, s[60:63], 0 offset:192 ; 4-byte Folded Spill
	s_clause 0x1
	buffer_load_dword v68, off, s[60:63], 0 offset:116
	buffer_load_dword v69, off, s[60:63], 0 offset:120
	v_fma_f64 v[18:19], v[201:202], s[50:51], v[16:17]
	v_fma_f64 v[16:17], v[201:202], s[38:39], v[16:17]
	v_mul_f64 v[201:202], v[120:121], s[22:23]
	v_add_f64 v[38:39], v[164:165], v[28:29]
	v_mul_f64 v[28:29], v[140:141], s[22:23]
	v_add_f64 v[74:75], v[10:11], v[22:23]
	v_add_f64 v[76:77], v[10:11], v[20:21]
	;; [unrolled: 1-line block ×5, first 2 shown]
	v_mul_f64 v[22:23], v[136:137], s[22:23]
	s_clause 0x1
	buffer_load_dword v164, off, s[60:63], 0 offset:36
	buffer_load_dword v165, off, s[60:63], 0 offset:40
	v_add_f64 v[70:71], v[10:11], v[16:17]
	v_add_f64 v[38:39], v[10:11], v[38:39]
	v_add_f64 v[40:41], v[28:29], -v[162:163]
	v_mul_f64 v[28:29], v[195:196], s[18:19]
	v_add_f64 v[40:41], v[8:9], v[40:41]
	v_add_f64 v[42:43], v[160:161], v[28:29]
	v_mul_f64 v[28:29], v[140:141], s[18:19]
	v_mul_f64 v[160:161], v[124:125], s[26:27]
	v_add_f64 v[42:43], v[10:11], v[42:43]
	v_add_f64 v[44:45], v[28:29], -v[158:159]
	v_mul_f64 v[28:29], v[195:196], s[16:17]
	v_mul_f64 v[158:159], v[134:135], s[24:25]
	v_add_f64 v[44:45], v[8:9], v[44:45]
	v_add_f64 v[46:47], v[156:157], v[28:29]
	v_mul_f64 v[28:29], v[140:141], s[16:17]
	v_mul_f64 v[156:157], v[114:115], s[46:47]
	v_add_f64 v[46:47], v[10:11], v[46:47]
	v_add_f64 v[48:49], v[28:29], -v[154:155]
	v_mul_f64 v[28:29], v[195:196], s[6:7]
	v_mul_f64 v[154:155], v[126:127], s[18:19]
	;; [unrolled: 1-line block ×3, first 2 shown]
	v_add_f64 v[48:49], v[8:9], v[48:49]
	v_add_f64 v[50:51], v[205:206], v[28:29]
	v_mul_f64 v[28:29], v[142:143], s[38:39]
	v_mul_f64 v[142:143], v[116:117], s[34:35]
	;; [unrolled: 1-line block ×3, first 2 shown]
	v_add_f64 v[50:51], v[10:11], v[50:51]
	v_fma_f64 v[58:59], v[140:141], s[36:37], v[28:29]
	v_fma_f64 v[28:29], v[140:141], s[36:37], -v[28:29]
	v_mul_f64 v[140:141], v[138:139], s[30:31]
	v_add_f64 v[58:59], v[8:9], v[58:59]
	v_add_f64 v[72:73], v[8:9], v[28:29]
	;; [unrolled: 1-line block ×3, first 2 shown]
	v_mul_f64 v[62:63], v[94:95], s[6:7]
	s_waitcnt vmcnt(2)
	v_add_f64 v[66:67], v[66:67], -v[68:69]
	v_add_f64 v[68:69], v[10:11], v[18:19]
	v_add_f64 v[18:19], v[8:9], v[64:65]
	v_mul_f64 v[64:65], v[86:87], s[48:49]
	v_add_f64 v[56:57], v[8:9], v[66:67]
	v_fma_f64 v[8:9], v[82:83], s[4:5], v[62:63]
	v_mul_f64 v[66:67], v[92:93], s[44:45]
	v_fma_f64 v[10:11], v[80:81], s[6:7], v[64:65]
	v_fma_f64 v[62:63], v[82:83], s[48:49], v[62:63]
	v_fma_f64 v[64:65], v[80:81], s[6:7], -v[64:65]
	v_add_f64 v[8:9], v[8:9], v[68:69]
	v_mul_f64 v[68:69], v[120:121], s[16:17]
	v_add_f64 v[10:11], v[10:11], v[58:59]
	v_mul_f64 v[58:59], v[102:103], s[40:41]
	v_add_f64 v[62:63], v[62:63], v[70:71]
	v_add_f64 v[64:65], v[64:65], v[72:73]
	v_mul_f64 v[70:71], v[94:95], s[18:19]
	v_fma_f64 v[16:17], v[88:89], s[42:43], v[58:59]
	v_fma_f64 v[58:59], v[88:89], s[44:45], v[58:59]
	;; [unrolled: 1-line block ×4, first 2 shown]
	v_add_f64 v[8:9], v[16:17], v[8:9]
	v_fma_f64 v[16:17], v[84:85], s[40:41], v[66:67]
	v_add_f64 v[58:59], v[58:59], v[62:63]
	v_fma_f64 v[62:63], v[84:85], s[40:41], -v[66:67]
	v_add_f64 v[72:73], v[72:73], v[74:75]
	v_mul_f64 v[74:75], v[86:87], s[46:47]
	v_add_f64 v[70:71], v[70:71], v[76:77]
	v_mul_f64 v[76:77], v[102:103], s[24:25]
	v_add_f64 v[10:11], v[16:17], v[10:11]
	v_fma_f64 v[16:17], v[96:97], s[10:11], v[68:69]
	v_add_f64 v[62:63], v[62:63], v[64:65]
	v_mul_f64 v[64:65], v[102:103], s[22:23]
	v_fma_f64 v[68:69], v[96:97], s[52:53], v[68:69]
	v_add_f64 v[76:77], v[187:188], v[76:77]
	v_add_f64 v[8:9], v[16:17], v[8:9]
	v_fma_f64 v[16:17], v[90:91], s[16:17], v[78:79]
	v_fma_f64 v[66:67], v[88:89], s[56:57], v[64:65]
	;; [unrolled: 1-line block ×3, first 2 shown]
	v_add_f64 v[58:59], v[68:69], v[58:59]
	v_fma_f64 v[68:69], v[90:91], s[16:17], -v[78:79]
	v_add_f64 v[10:11], v[16:17], v[10:11]
	v_fma_f64 v[16:17], v[112:113], s[54:55], v[140:141]
	v_add_f64 v[66:67], v[66:67], v[72:73]
	v_mul_f64 v[72:73], v[92:93], s[20:21]
	v_add_f64 v[64:65], v[64:65], v[70:71]
	v_add_f64 v[62:63], v[68:69], v[62:63]
	v_mul_f64 v[68:69], v[120:121], s[30:31]
	v_add_f64 v[8:9], v[16:17], v[8:9]
	v_fma_f64 v[16:17], v[98:99], s[30:31], v[142:143]
	v_fma_f64 v[70:71], v[84:85], s[22:23], -v[72:73]
	v_add_f64 v[10:11], v[16:17], v[10:11]
	v_fma_f64 v[16:17], v[122:123], s[8:9], v[154:155]
	v_add_f64 v[8:9], v[16:17], v[8:9]
	v_fma_f64 v[16:17], v[108:109], s[18:19], v[156:157]
	;; [unrolled: 2-line block ×5, first 2 shown]
	v_mul_f64 v[16:17], v[132:133], s[56:57]
	v_fma_f64 v[22:23], v[130:131], s[56:57], v[22:23]
	v_add_f64 v[12:13], v[10:11], v[8:9]
	v_fma_f64 v[8:9], v[118:119], s[22:23], v[16:17]
	v_fma_f64 v[16:17], v[118:119], s[22:23], -v[16:17]
	v_add_f64 v[10:11], v[8:9], v[162:163]
	v_mov_b32_e32 v8, v182
	v_mov_b32_e32 v9, v183
	;; [unrolled: 1-line block ×12, first 2 shown]
	s_clause 0x1
	buffer_load_dword v168, off, s[60:63], 0 offset:68
	buffer_load_dword v169, off, s[60:63], 0 offset:72
	v_mul_f64 v[162:163], v[94:95], s[16:17]
	s_waitcnt vmcnt(2)
	v_add_f64 v[162:163], v[164:165], v[162:163]
	v_mul_f64 v[164:165], v[80:81], s[16:17]
	v_add_f64 v[50:51], v[162:163], v[50:51]
	v_add_f64 v[164:165], v[164:165], -v[170:171]
	v_add_f64 v[56:57], v[164:165], v[56:57]
	s_waitcnt vmcnt(0)
	v_add_f64 v[166:167], v[168:169], v[166:167]
	s_clause 0x1
	buffer_load_dword v168, off, s[60:63], 0 offset:12
	buffer_load_dword v169, off, s[60:63], 0 offset:16
	v_add_f64 v[50:51], v[166:167], v[50:51]
	s_waitcnt vmcnt(0)
	v_add_f64 v[195:196], v[195:196], -v[168:169]
	s_clause 0x1
	buffer_load_dword v168, off, s[60:63], 0 offset:84
	buffer_load_dword v169, off, s[60:63], 0 offset:88
	v_add_f64 v[56:57], v[195:196], v[56:57]
	s_waitcnt vmcnt(0)
	v_add_f64 v[201:202], v[168:169], v[201:202]
	s_clause 0x3
	buffer_load_dword v168, off, s[60:63], 0 offset:52
	buffer_load_dword v169, off, s[60:63], 0 offset:56
	;; [unrolled: 1-line block ×4, first 2 shown]
	v_add_f64 v[50:51], v[201:202], v[50:51]
	s_waitcnt vmcnt(2)
	v_add_f64 v[205:206], v[205:206], -v[168:169]
	v_mul_f64 v[168:169], v[138:139], s[24:25]
	v_add_f64 v[56:57], v[205:206], v[56:57]
	v_add_f64 v[168:169], v[189:190], v[168:169]
	v_mul_f64 v[189:190], v[98:99], s[24:25]
	v_add_f64 v[50:51], v[168:169], v[50:51]
	s_waitcnt vmcnt(0)
	v_add_f64 v[189:190], v[189:190], -v[170:171]
	v_mul_f64 v[170:171], v[126:127], s[30:31]
	v_add_f64 v[56:57], v[189:190], v[56:57]
	v_add_f64 v[170:171], v[209:210], v[170:171]
	v_mul_f64 v[209:210], v[108:109], s[30:31]
	v_add_f64 v[50:51], v[170:171], v[50:51]
	v_add_f64 v[185:186], v[209:210], -v[185:186]
	v_mul_f64 v[209:210], v[134:135], s[40:41]
	v_add_f64 v[56:57], v[185:186], v[56:57]
	v_add_f64 v[209:210], v[213:214], v[209:210]
	v_mul_f64 v[213:214], v[110:111], s[40:41]
	v_add_f64 v[50:51], v[209:210], v[50:51]
	v_add_f64 v[207:208], v[213:214], -v[207:208]
	v_mul_f64 v[213:214], v[136:137], s[36:37]
	v_add_f64 v[56:57], v[207:208], v[56:57]
	v_add_f64 v[213:214], v[219:220], v[213:214]
	v_mul_f64 v[219:220], v[118:119], s[36:37]
	v_add_f64 v[211:212], v[219:220], -v[211:212]
	v_mul_f64 v[219:220], v[94:95], s[22:23]
	v_add_f64 v[219:220], v[223:224], v[219:220]
	v_mul_f64 v[223:224], v[80:81], s[22:23]
	v_add_f64 v[46:47], v[219:220], v[46:47]
	v_add_f64 v[215:216], v[223:224], -v[215:216]
	v_mul_f64 v[223:224], v[102:103], s[30:31]
	v_add_f64 v[48:49], v[215:216], v[48:49]
	v_add_f64 v[223:224], v[231:232], v[223:224]
	v_mul_f64 v[231:232], v[84:85], s[30:31]
	v_add_f64 v[46:47], v[223:224], v[46:47]
	v_add_f64 v[217:218], v[231:232], -v[217:218]
	v_mul_f64 v[231:232], v[120:121], s[36:37]
	v_add_f64 v[48:49], v[217:218], v[48:49]
	;; [unrolled: 6-line block ×6, first 2 shown]
	v_add_f64 v[243:244], v[249:250], v[243:244]
	v_mul_f64 v[249:250], v[118:119], s[6:7]
	v_add_f64 v[239:240], v[249:250], -v[239:240]
	v_mul_f64 v[249:250], v[94:95], s[30:31]
	v_add_f64 v[249:250], v[251:252], v[249:250]
	v_mul_f64 v[251:252], v[102:103], s[36:37]
	v_add_f64 v[42:43], v[249:250], v[42:43]
	v_add_f64 v[146:147], v[146:147], v[251:252]
	v_mul_f64 v[251:252], v[120:121], s[24:25]
	v_add_f64 v[42:43], v[146:147], v[42:43]
	;; [unrolled: 3-line block ×3, first 2 shown]
	v_add_f64 v[241:242], v[251:252], -v[241:242]
	v_mul_f64 v[251:252], v[138:139], s[16:17]
	v_add_f64 v[44:45], v[241:242], v[44:45]
	v_add_f64 v[152:153], v[152:153], v[251:252]
	v_mul_f64 v[251:252], v[84:85], s[36:37]
	v_add_f64 v[42:43], v[152:153], v[42:43]
	v_add_f64 v[245:246], v[251:252], -v[245:246]
	v_mul_f64 v[251:252], v[90:91], s[24:25]
	v_add_f64 v[44:45], v[245:246], v[44:45]
	v_add_f64 v[247:248], v[251:252], -v[247:248]
	;; [unrolled: 3-line block ×3, first 2 shown]
	v_mul_f64 v[253:254], v[126:127], s[6:7]
	v_add_f64 v[44:45], v[251:252], v[44:45]
	v_add_f64 v[148:149], v[148:149], v[253:254]
	v_mul_f64 v[253:254], v[108:109], s[6:7]
	v_add_f64 v[42:43], v[148:149], v[42:43]
	v_add_f64 v[144:145], v[253:254], -v[144:145]
	v_fma_f64 v[253:254], v[80:81], s[18:19], v[74:75]
	v_fma_f64 v[74:75], v[80:81], s[18:19], -v[74:75]
	v_add_f64 v[44:45], v[144:145], v[44:45]
	v_add_f64 v[60:61], v[253:254], v[60:61]
	;; [unrolled: 1-line block ×3, first 2 shown]
	v_fma_f64 v[74:75], v[84:85], s[22:23], v[72:73]
	v_add_f64 v[52:53], v[70:71], v[52:53]
	v_fma_f64 v[70:71], v[96:97], s[34:35], v[68:69]
	v_fma_f64 v[68:69], v[96:97], s[54:55], v[68:69]
	v_add_f64 v[60:61], v[74:75], v[60:61]
	v_add_f64 v[66:67], v[70:71], v[66:67]
	v_mul_f64 v[70:71], v[100:101], s[54:55]
	v_add_f64 v[64:65], v[68:69], v[64:65]
	v_fma_f64 v[68:69], v[90:91], s[30:31], -v[70:71]
	v_fma_f64 v[72:73], v[90:91], s[30:31], v[70:71]
	v_add_f64 v[52:53], v[68:69], v[52:53]
	v_fma_f64 v[68:69], v[112:113], s[34:35], v[140:141]
	v_add_f64 v[60:61], v[72:73], v[60:61]
	v_add_f64 v[58:59], v[68:69], v[58:59]
	v_fma_f64 v[68:69], v[98:99], s[30:31], -v[142:143]
	v_add_f64 v[62:63], v[68:69], v[62:63]
	v_mul_f64 v[68:69], v[138:139], s[6:7]
	v_fma_f64 v[70:71], v[112:113], s[48:49], v[68:69]
	v_fma_f64 v[68:69], v[112:113], s[4:5], v[68:69]
	v_add_f64 v[66:67], v[70:71], v[66:67]
	v_mul_f64 v[70:71], v[116:117], s[4:5]
	v_add_f64 v[64:65], v[68:69], v[64:65]
	v_fma_f64 v[68:69], v[98:99], s[6:7], -v[70:71]
	v_fma_f64 v[72:73], v[98:99], s[6:7], v[70:71]
	v_add_f64 v[52:53], v[68:69], v[52:53]
	v_fma_f64 v[68:69], v[122:123], s[46:47], v[154:155]
	v_add_f64 v[60:61], v[72:73], v[60:61]
	v_add_f64 v[58:59], v[68:69], v[58:59]
	v_fma_f64 v[68:69], v[108:109], s[18:19], -v[156:157]
	v_add_f64 v[62:63], v[68:69], v[62:63]
	v_mul_f64 v[68:69], v[126:127], s[36:37]
	v_fma_f64 v[70:71], v[122:123], s[50:51], v[68:69]
	v_fma_f64 v[68:69], v[122:123], s[38:39], v[68:69]
	v_add_f64 v[66:67], v[70:71], v[66:67]
	v_mul_f64 v[70:71], v[114:115], s[38:39]
	v_add_f64 v[64:65], v[68:69], v[64:65]
	v_fma_f64 v[68:69], v[108:109], s[36:37], -v[70:71]
	v_fma_f64 v[72:73], v[108:109], s[36:37], v[70:71]
	v_add_f64 v[52:53], v[68:69], v[52:53]
	v_fma_f64 v[68:69], v[128:129], s[26:27], v[158:159]
	v_add_f64 v[60:61], v[72:73], v[60:61]
	v_add_f64 v[58:59], v[68:69], v[58:59]
	v_fma_f64 v[68:69], v[110:111], s[24:25], -v[160:161]
	v_add_f64 v[62:63], v[68:69], v[62:63]
	v_mul_f64 v[68:69], v[134:135], s[16:17]
	v_add_f64 v[16:17], v[16:17], v[62:63]
	v_fma_f64 v[70:71], v[128:129], s[10:11], v[68:69]
	v_fma_f64 v[68:69], v[128:129], s[52:53], v[68:69]
	v_add_f64 v[66:67], v[70:71], v[66:67]
	v_mul_f64 v[70:71], v[124:125], s[52:53]
	v_add_f64 v[64:65], v[68:69], v[64:65]
	v_fma_f64 v[72:73], v[110:111], s[16:17], v[70:71]
	v_fma_f64 v[68:69], v[110:111], s[16:17], -v[70:71]
	s_clause 0x1
	buffer_load_dword v70, off, s[60:63], 0 offset:164
	buffer_load_dword v71, off, s[60:63], 0 offset:168
	v_add_f64 v[60:61], v[72:73], v[60:61]
	s_clause 0x3
	buffer_load_dword v72, off, s[60:63], 0 offset:148
	buffer_load_dword v73, off, s[60:63], 0 offset:152
	;; [unrolled: 1-line block ×4, first 2 shown]
	v_add_f64 v[52:53], v[68:69], v[52:53]
	v_mul_f64 v[68:69], v[134:135], s[22:23]
	s_waitcnt vmcnt(4)
	v_add_f64 v[68:69], v[70:71], v[68:69]
	v_mul_f64 v[70:71], v[110:111], s[22:23]
	v_add_f64 v[42:43], v[68:69], v[42:43]
	s_waitcnt vmcnt(2)
	v_add_f64 v[70:71], v[70:71], -v[72:73]
	v_mul_f64 v[72:73], v[136:137], s[40:41]
	v_mul_f64 v[68:69], v[118:119], s[40:41]
	v_add_f64 v[44:45], v[70:71], v[44:45]
	s_waitcnt vmcnt(0)
	v_add_f64 v[72:73], v[74:75], v[72:73]
	s_clause 0x3
	buffer_load_dword v74, off, s[60:63], 0 offset:156
	buffer_load_dword v75, off, s[60:63], 0 offset:160
	;; [unrolled: 1-line block ×4, first 2 shown]
	v_mul_f64 v[70:71], v[120:121], s[6:7]
	v_add_f64 v[42:43], v[72:73], v[42:43]
	v_add_f64 v[70:71], v[203:204], v[70:71]
	s_waitcnt vmcnt(2)
	v_add_f64 v[68:69], v[68:69], -v[74:75]
	v_mul_f64 v[74:75], v[94:95], s[36:37]
	v_add_f64 v[74:75], v[178:179], v[74:75]
	v_add_f64 v[38:39], v[74:75], v[38:39]
	v_mul_f64 v[74:75], v[80:81], s[36:37]
	v_add_f64 v[38:39], v[76:77], v[38:39]
	s_waitcnt vmcnt(0)
	v_add_f64 v[74:75], v[74:75], -v[78:79]
	v_mul_f64 v[78:79], v[84:85], s[24:25]
	v_mul_f64 v[76:77], v[138:139], s[18:19]
	v_add_f64 v[38:39], v[70:71], v[38:39]
	v_add_f64 v[40:41], v[74:75], v[40:41]
	v_add_f64 v[78:79], v[78:79], -v[172:173]
	v_mul_f64 v[74:75], v[90:91], s[6:7]
	v_mul_f64 v[70:71], v[98:99], s[18:19]
	v_add_f64 v[76:77], v[191:192], v[76:77]
	v_add_f64 v[40:41], v[78:79], v[40:41]
	v_add_f64 v[74:75], v[74:75], -v[174:175]
	v_add_f64 v[70:71], v[70:71], -v[176:177]
	v_add_f64 v[38:39], v[76:77], v[38:39]
	v_mul_f64 v[76:77], v[108:109], s[40:41]
	v_add_f64 v[40:41], v[74:75], v[40:41]
	v_mul_f64 v[74:75], v[126:127], s[40:41]
	v_add_f64 v[76:77], v[76:77], -v[180:181]
	v_add_f64 v[40:41], v[70:71], v[40:41]
	v_add_f64 v[74:75], v[193:194], v[74:75]
	v_mul_f64 v[70:71], v[134:135], s[30:31]
	v_add_f64 v[40:41], v[76:77], v[40:41]
	v_add_f64 v[38:39], v[74:75], v[38:39]
	;; [unrolled: 1-line block ×3, first 2 shown]
	v_mul_f64 v[74:75], v[110:111], s[30:31]
	v_mul_f64 v[76:77], v[136:137], s[16:17]
	v_add_f64 v[70:71], v[70:71], v[38:39]
	v_mul_f64 v[38:39], v[118:119], s[16:17]
	v_add_f64 v[74:75], v[74:75], -v[182:183]
	v_add_f64 v[76:77], v[199:200], v[76:77]
	v_add_f64 v[78:79], v[38:39], -v[8:9]
	v_mul_f64 v[38:39], v[94:95], s[40:41]
	v_add_f64 v[74:75], v[74:75], v[40:41]
	v_mul_f64 v[94:95], v[94:95], s[24:25]
	v_fma_f64 v[40:41], v[82:83], s[42:43], v[38:39]
	v_fma_f64 v[38:39], v[82:83], s[44:45], v[38:39]
	v_add_f64 v[34:35], v[40:41], v[34:35]
	v_mul_f64 v[40:41], v[102:103], s[16:17]
	v_mul_f64 v[102:103], v[102:103], s[6:7]
	v_add_f64 v[20:21], v[38:39], v[20:21]
	v_fma_f64 v[140:141], v[88:89], s[52:53], v[40:41]
	v_fma_f64 v[38:39], v[88:89], s[10:11], v[40:41]
	v_add_f64 v[34:35], v[140:141], v[34:35]
	v_mul_f64 v[140:141], v[86:87], s[42:43]
	v_mul_f64 v[86:87], v[86:87], s[28:29]
	v_add_f64 v[20:21], v[38:39], v[20:21]
	v_fma_f64 v[142:143], v[80:81], s[40:41], -v[140:141]
	v_add_f64 v[36:37], v[142:143], v[36:37]
	v_mul_f64 v[142:143], v[120:121], s[18:19]
	v_mul_f64 v[120:121], v[120:121], s[40:41]
	v_fma_f64 v[144:145], v[96:97], s[8:9], v[142:143]
	v_fma_f64 v[38:39], v[96:97], s[46:47], v[142:143]
	v_add_f64 v[34:35], v[144:145], v[34:35]
	v_mul_f64 v[144:145], v[92:93], s[52:53]
	v_mul_f64 v[92:93], v[92:93], s[4:5]
	v_add_f64 v[20:21], v[38:39], v[20:21]
	v_fma_f64 v[146:147], v[84:85], s[16:17], -v[144:145]
	v_fma_f64 v[40:41], v[84:85], s[6:7], v[92:93]
	v_add_f64 v[36:37], v[146:147], v[36:37]
	v_mul_f64 v[146:147], v[100:101], s[8:9]
	v_mul_f64 v[100:101], v[100:101], s[44:45]
	v_fma_f64 v[148:149], v[90:91], s[18:19], -v[146:147]
	v_add_f64 v[36:37], v[148:149], v[36:37]
	v_mul_f64 v[148:149], v[138:139], s[36:37]
	v_mul_f64 v[138:139], v[138:139], s[22:23]
	v_fma_f64 v[150:151], v[112:113], s[38:39], v[148:149]
	v_fma_f64 v[38:39], v[112:113], s[50:51], v[148:149]
	v_add_f64 v[34:35], v[150:151], v[34:35]
	v_mul_f64 v[150:151], v[116:117], s[38:39]
	v_mul_f64 v[116:117], v[116:117], s[56:57]
	v_add_f64 v[20:21], v[38:39], v[20:21]
	v_fma_f64 v[152:153], v[98:99], s[36:37], -v[150:151]
	v_add_f64 v[36:37], v[152:153], v[36:37]
	v_mul_f64 v[152:153], v[126:127], s[22:23]
	v_fma_f64 v[154:155], v[122:123], s[56:57], v[152:153]
	v_add_f64 v[34:35], v[154:155], v[34:35]
	v_fma_f64 v[154:155], v[82:83], s[28:29], v[94:95]
	v_fma_f64 v[94:95], v[82:83], s[26:27], v[94:95]
	v_fma_f64 v[82:83], v[88:89], s[48:49], v[102:103]
	v_add_f64 v[32:33], v[154:155], v[32:33]
	v_fma_f64 v[154:155], v[88:89], s[4:5], v[102:103]
	v_add_f64 v[30:31], v[94:95], v[30:31]
	v_fma_f64 v[88:89], v[122:123], s[20:21], v[152:153]
	v_mul_f64 v[94:95], v[134:135], s[36:37]
	v_mul_f64 v[102:103], v[136:137], s[18:19]
	v_add_f64 v[32:33], v[154:155], v[32:33]
	v_fma_f64 v[154:155], v[96:97], s[44:45], v[120:121]
	v_add_f64 v[30:31], v[82:83], v[30:31]
	v_fma_f64 v[82:83], v[96:97], s[42:43], v[120:121]
	v_mul_f64 v[96:97], v[124:125], s[38:39]
	v_add_f64 v[20:21], v[88:89], v[20:21]
	v_fma_f64 v[88:89], v[128:129], s[38:39], v[94:95]
	v_fma_f64 v[94:95], v[128:129], s[50:51], v[94:95]
	v_add_f64 v[32:33], v[154:155], v[32:33]
	v_fma_f64 v[154:155], v[112:113], s[56:57], v[138:139]
	v_add_f64 v[30:31], v[82:83], v[30:31]
	;; [unrolled: 2-line block ×3, first 2 shown]
	v_fma_f64 v[154:155], v[80:81], s[24:25], -v[86:87]
	v_fma_f64 v[86:87], v[80:81], s[24:25], v[86:87]
	v_fma_f64 v[80:81], v[80:81], s[40:41], v[140:141]
	v_add_f64 v[30:31], v[82:83], v[30:31]
	v_mul_f64 v[82:83], v[114:115], s[56:57]
	v_add_f64 v[54:55], v[154:155], v[54:55]
	v_add_f64 v[28:29], v[86:87], v[28:29]
	v_fma_f64 v[154:155], v[84:85], s[6:7], -v[92:93]
	v_add_f64 v[18:19], v[80:81], v[18:19]
	v_fma_f64 v[80:81], v[84:85], s[16:17], v[144:145]
	v_mul_f64 v[84:85], v[126:127], s[16:17]
	v_mul_f64 v[92:93], v[124:125], s[4:5]
	;; [unrolled: 1-line block ×3, first 2 shown]
	v_add_f64 v[28:29], v[40:41], v[28:29]
	v_fma_f64 v[40:41], v[90:91], s[40:41], v[100:101]
	v_add_f64 v[54:55], v[154:155], v[54:55]
	v_fma_f64 v[154:155], v[90:91], s[40:41], -v[100:101]
	v_fma_f64 v[38:39], v[122:123], s[10:11], v[84:85]
	v_fma_f64 v[84:85], v[122:123], s[52:53], v[84:85]
	v_fma_f64 v[100:101], v[110:111], s[36:37], -v[96:97]
	v_fma_f64 v[96:97], v[110:111], s[36:37], v[96:97]
	v_add_f64 v[18:19], v[80:81], v[18:19]
	v_fma_f64 v[80:81], v[90:91], s[18:19], v[146:147]
	v_mul_f64 v[90:91], v[134:135], s[6:7]
	v_add_f64 v[28:29], v[40:41], v[28:29]
	v_fma_f64 v[40:41], v[98:99], s[22:23], v[116:117]
	v_add_f64 v[54:55], v[154:155], v[54:55]
	v_add_f64 v[32:33], v[38:39], v[32:33]
	;; [unrolled: 1-line block ×3, first 2 shown]
	v_fma_f64 v[84:85], v[110:111], s[6:7], -v[92:93]
	v_fma_f64 v[92:93], v[110:111], s[6:7], v[92:93]
	v_fma_f64 v[154:155], v[98:99], s[22:23], -v[116:117]
	v_add_f64 v[18:19], v[80:81], v[18:19]
	v_fma_f64 v[80:81], v[98:99], s[36:37], v[150:151]
	v_mul_f64 v[38:39], v[132:133], s[26:27]
	v_mul_f64 v[98:99], v[132:133], s[34:35]
	v_add_f64 v[28:29], v[40:41], v[28:29]
	v_fma_f64 v[40:41], v[108:109], s[22:23], -v[82:83]
	v_add_f64 v[88:89], v[88:89], v[32:33]
	v_add_f64 v[32:33], v[211:212], v[56:57]
	buffer_load_dword v56, off, s[60:63], 0 ; 4-byte Folded Reload
	v_add_f64 v[94:95], v[94:95], v[30:31]
	v_fma_f64 v[82:83], v[108:109], s[22:23], v[82:83]
	v_add_f64 v[54:55], v[154:155], v[54:55]
	v_add_f64 v[18:19], v[80:81], v[18:19]
	v_fma_f64 v[80:81], v[108:109], s[16:17], -v[86:87]
	v_fma_f64 v[86:87], v[108:109], s[16:17], v[86:87]
	v_mul_f64 v[108:109], v[132:133], s[46:47]
	v_fma_f64 v[112:113], v[118:119], s[30:31], -v[98:99]
	v_fma_f64 v[98:99], v[118:119], s[30:31], v[98:99]
	v_add_f64 v[36:37], v[40:41], v[36:37]
	v_mul_f64 v[40:41], v[136:137], s[24:25]
	v_add_f64 v[82:83], v[82:83], v[18:19]
	v_add_f64 v[18:19], v[22:23], v[58:59]
	;; [unrolled: 1-line block ×3, first 2 shown]
	v_fma_f64 v[80:81], v[128:129], s[4:5], v[90:91]
	v_add_f64 v[28:29], v[86:87], v[28:29]
	v_mul_f64 v[86:87], v[136:137], s[30:31]
	v_fma_f64 v[90:91], v[128:129], s[48:49], v[90:91]
	v_fma_f64 v[114:115], v[118:119], s[18:19], -v[108:109]
	v_fma_f64 v[108:109], v[118:119], s[18:19], v[108:109]
	v_add_f64 v[58:59], v[84:85], v[36:37]
	v_fma_f64 v[110:111], v[130:131], s[28:29], v[40:41]
	v_fma_f64 v[40:41], v[130:131], s[26:27], v[40:41]
	v_add_f64 v[36:37], v[239:240], v[48:49]
	v_add_f64 v[82:83], v[92:93], v[82:83]
	;; [unrolled: 1-line block ×4, first 2 shown]
	v_fma_f64 v[34:35], v[118:119], s[24:25], v[38:39]
	v_fma_f64 v[38:39], v[118:119], s[24:25], -v[38:39]
	v_fma_f64 v[84:85], v[130:131], s[34:35], v[86:87]
	v_fma_f64 v[54:55], v[130:131], s[46:47], v[102:103]
	v_add_f64 v[96:97], v[96:97], v[28:29]
	v_fma_f64 v[102:103], v[130:131], s[8:9], v[102:103]
	v_fma_f64 v[86:87], v[130:131], s[54:55], v[86:87]
	v_add_f64 v[90:91], v[90:91], v[20:21]
	v_add_f64 v[48:49], v[112:113], v[58:59]
	;; [unrolled: 1-line block ×4, first 2 shown]
	buffer_load_dword v65, off, s[60:63], 0 offset:4 ; 4-byte Folded Reload
	v_add_f64 v[40:41], v[68:69], v[44:45]
	v_add_f64 v[44:45], v[78:79], v[74:75]
	;; [unrolled: 1-line block ×13, first 2 shown]
	s_waitcnt vmcnt(1)
	v_mul_lo_u16 v64, v56, 17
	v_add_f64 v[56:57], v[108:109], v[96:97]
	v_and_b32_e32 v64, 0xffff, v64
	s_waitcnt vmcnt(0)
	v_add_lshl_u32 v64, v65, v64, 4
	s_clause 0x3
	buffer_load_dword v65, off, s[60:63], 0 offset:180
	buffer_load_dword v66, off, s[60:63], 0 offset:184
	;; [unrolled: 1-line block ×4, first 2 shown]
	s_waitcnt vmcnt(0)
	ds_write_b128 v64, v[65:68]
	ds_write_b128 v64, v[32:35] offset:16
	ds_write_b128 v64, v[36:39] offset:32
	;; [unrolled: 1-line block ×16, first 2 shown]
.LBB0_7:
	s_or_b32 exec_lo, exec_lo, s33
	buffer_load_dword v225, off, s[60:63], 0 ; 4-byte Folded Reload
	v_mov_b32_e32 v9, 12
	s_load_dwordx4 s[4:7], s[0:1], 0x0
	s_waitcnt vmcnt(0) lgkmcnt(0)
	s_waitcnt_vscnt null, 0x0
	s_barrier
	buffer_gl0_inv
	s_mov_b32 s28, 0x42a4c3d2
	s_mov_b32 s30, 0x66966769
	;; [unrolled: 1-line block ×30, first 2 shown]
	v_and_b32_e32 v8, 0xff, v225
	v_mul_lo_u16 v8, 0xf1, v8
	v_lshrrev_b16 v205, 12, v8
	v_mul_lo_u16 v8, v205, 17
	v_sub_nc_u16 v206, v225, v8
	v_mul_u32_u24_sdwa v8, v206, v9 dst_sel:DWORD dst_unused:UNUSED_PAD src0_sel:BYTE_0 src1_sel:DWORD
	v_lshlrev_b32_e32 v100, 4, v8
	s_clause 0x6
	global_load_dwordx4 v[80:83], v100, s[2:3]
	global_load_dwordx4 v[76:79], v100, s[2:3] offset:16
	global_load_dwordx4 v[72:75], v100, s[2:3] offset:32
	;; [unrolled: 1-line block ×6, first 2 shown]
	buffer_load_dword v226, off, s[60:63], 0 offset:4 ; 4-byte Folded Reload
	s_waitcnt vmcnt(0)
	v_add_lshl_u32 v255, v226, v225, 4
	ds_read_b128 v[8:11], v255 offset:1360
	ds_read_b128 v[12:15], v255 offset:2720
	;; [unrolled: 1-line block ×3, first 2 shown]
	s_clause 0x3
	global_load_dwordx4 v[84:87], v100, s[2:3] offset:112
	global_load_dwordx4 v[88:91], v100, s[2:3] offset:128
	global_load_dwordx4 v[92:95], v100, s[2:3] offset:144
	global_load_dwordx4 v[96:99], v100, s[2:3] offset:160
	ds_read_b128 v[28:31], v255 offset:6800
	ds_read_b128 v[20:23], v255 offset:5440
	ds_read_b128 v[146:149], v255
	global_load_dwordx4 v[100:103], v100, s[2:3] offset:176
	s_waitcnt lgkmcnt(5)
	v_mul_f64 v[32:33], v[10:11], v[82:83]
	v_mul_f64 v[34:35], v[8:9], v[82:83]
	s_waitcnt lgkmcnt(3)
	v_mul_f64 v[40:41], v[18:19], v[74:75]
	v_mul_f64 v[36:37], v[14:15], v[78:79]
	;; [unrolled: 1-line block ×4, first 2 shown]
	s_waitcnt lgkmcnt(1)
	v_mul_f64 v[44:45], v[22:23], v[70:71]
	v_fma_f64 v[8:9], v[8:9], v[80:81], -v[32:33]
	v_fma_f64 v[10:11], v[10:11], v[80:81], v[34:35]
	ds_read_b128 v[32:35], v255 offset:8160
	v_fma_f64 v[120:121], v[16:17], v[72:73], -v[40:41]
	v_mul_f64 v[16:17], v[28:29], v[66:67]
	v_fma_f64 v[112:113], v[12:13], v[76:77], -v[36:37]
	v_mul_f64 v[12:13], v[20:21], v[70:71]
	v_fma_f64 v[114:115], v[14:15], v[76:77], v[38:39]
	v_fma_f64 v[124:125], v[20:21], v[68:69], -v[44:45]
	v_fma_f64 v[122:123], v[18:19], v[72:73], v[42:43]
	v_mul_f64 v[36:37], v[30:31], v[66:67]
	s_waitcnt lgkmcnt(0)
	v_mul_f64 v[18:19], v[34:35], v[62:63]
	v_add_f64 v[140:141], v[146:147], v[8:9]
	v_add_f64 v[142:143], v[148:149], v[10:11]
	v_fma_f64 v[130:131], v[30:31], v[64:65], v[16:17]
	v_mul_f64 v[16:17], v[32:33], v[62:63]
	v_fma_f64 v[126:127], v[22:23], v[68:69], v[12:13]
	ds_read_b128 v[12:15], v255 offset:9520
	v_fma_f64 v[128:129], v[28:29], v[64:65], -v[36:37]
	v_fma_f64 v[132:133], v[32:33], v[60:61], -v[18:19]
	s_waitcnt lgkmcnt(0)
	v_mul_f64 v[20:21], v[14:15], v[58:59]
	v_fma_f64 v[134:135], v[34:35], v[60:61], v[16:17]
	v_mul_f64 v[16:17], v[12:13], v[58:59]
	v_fma_f64 v[116:117], v[12:13], v[56:57], -v[20:21]
	v_fma_f64 v[118:119], v[14:15], v[56:57], v[16:17]
	ds_read_b128 v[12:15], v255 offset:10880
	v_add_f64 v[213:214], v[132:133], v[116:117]
	v_add_f64 v[219:220], v[134:135], v[118:119]
	s_waitcnt vmcnt(4) lgkmcnt(0)
	v_mul_f64 v[16:17], v[14:15], v[86:87]
	v_fma_f64 v[52:53], v[12:13], v[84:85], -v[16:17]
	v_mul_f64 v[12:13], v[12:13], v[86:87]
	v_add_f64 v[203:204], v[128:129], -v[52:53]
	v_fma_f64 v[54:55], v[14:15], v[84:85], v[12:13]
	ds_read_b128 v[12:15], v255 offset:12240
	s_waitcnt vmcnt(3) lgkmcnt(0)
	v_mul_f64 v[16:17], v[14:15], v[90:91]
	v_add_f64 v[201:202], v[130:131], -v[54:55]
	v_mul_f64 v[209:210], v[203:204], s[24:25]
	v_fma_f64 v[48:49], v[12:13], v[88:89], -v[16:17]
	v_mul_f64 v[12:13], v[12:13], v[90:91]
	v_mul_f64 v[207:208], v[201:202], s[24:25]
	v_add_f64 v[183:184], v[124:125], -v[48:49]
	v_fma_f64 v[50:51], v[14:15], v[88:89], v[12:13]
	ds_read_b128 v[12:15], v255 offset:13600
	s_waitcnt vmcnt(2) lgkmcnt(0)
	v_mul_f64 v[16:17], v[14:15], v[94:95]
	v_add_f64 v[181:182], v[126:127], -v[50:51]
	v_mul_f64 v[199:200], v[183:184], s[20:21]
	v_fma_f64 v[44:45], v[12:13], v[92:93], -v[16:17]
	v_mul_f64 v[12:13], v[12:13], v[94:95]
	v_mul_f64 v[197:198], v[181:182], s[20:21]
	v_fma_f64 v[46:47], v[14:15], v[92:93], v[12:13]
	ds_read_b128 v[12:15], v255 offset:14960
	s_waitcnt vmcnt(1) lgkmcnt(0)
	v_mul_f64 v[16:17], v[14:15], v[98:99]
	v_fma_f64 v[40:41], v[12:13], v[96:97], -v[16:17]
	v_mul_f64 v[12:13], v[12:13], v[98:99]
	v_fma_f64 v[42:43], v[14:15], v[96:97], v[12:13]
	ds_read_b128 v[12:15], v255 offset:16320
	s_waitcnt vmcnt(0) lgkmcnt(0)
	s_barrier
	buffer_gl0_inv
	v_mul_f64 v[16:17], v[14:15], v[102:103]
	v_fma_f64 v[136:137], v[12:13], v[100:101], -v[16:17]
	v_mul_f64 v[12:13], v[12:13], v[102:103]
	v_add_f64 v[28:29], v[8:9], v[136:137]
	v_fma_f64 v[138:139], v[14:15], v[100:101], v[12:13]
	v_add_f64 v[12:13], v[10:11], -v[138:139]
	v_add_f64 v[110:111], v[10:11], v[138:139]
	v_mul_f64 v[14:15], v[12:13], s[22:23]
	v_mul_f64 v[16:17], v[12:13], s[28:29]
	;; [unrolled: 1-line block ×6, first 2 shown]
	v_fma_f64 v[30:31], v[28:29], s[16:17], -v[14:15]
	v_fma_f64 v[14:15], v[28:29], s[16:17], v[14:15]
	v_fma_f64 v[32:33], v[28:29], s[10:11], -v[16:17]
	v_fma_f64 v[16:17], v[28:29], s[10:11], v[16:17]
	v_fma_f64 v[34:35], v[28:29], s[0:1], -v[18:19]
	v_fma_f64 v[154:155], v[28:29], s[26:27], -v[12:13]
	v_fma_f64 v[156:157], v[28:29], s[26:27], v[12:13]
	v_add_f64 v[12:13], v[8:9], -v[136:137]
	v_fma_f64 v[36:37], v[28:29], s[0:1], v[18:19]
	v_fma_f64 v[38:39], v[28:29], s[8:9], -v[20:21]
	v_fma_f64 v[144:145], v[28:29], s[8:9], v[20:21]
	v_fma_f64 v[150:151], v[28:29], s[18:19], -v[22:23]
	v_fma_f64 v[152:153], v[28:29], s[18:19], v[22:23]
	v_add_f64 v[8:9], v[146:147], v[30:31]
	v_add_f64 v[30:31], v[146:147], v[34:35]
	;; [unrolled: 1-line block ×3, first 2 shown]
	v_mul_f64 v[18:19], v[12:13], s[22:23]
	v_mul_f64 v[20:21], v[12:13], s[28:29]
	;; [unrolled: 1-line block ×6, first 2 shown]
	v_add_f64 v[38:39], v[146:147], v[38:39]
	v_add_f64 v[34:35], v[146:147], v[144:145]
	s_mov_b32 s23, 0x3fddbe06
	v_fma_f64 v[158:159], v[110:111], s[16:17], v[18:19]
	v_fma_f64 v[18:19], v[110:111], s[16:17], -v[18:19]
	v_fma_f64 v[162:163], v[110:111], s[10:11], -v[20:21]
	v_fma_f64 v[168:169], v[110:111], s[8:9], v[28:29]
	v_fma_f64 v[160:161], v[110:111], s[10:11], v[20:21]
	;; [unrolled: 1-line block ×3, first 2 shown]
	v_fma_f64 v[166:167], v[110:111], s[0:1], -v[22:23]
	v_fma_f64 v[170:171], v[110:111], s[8:9], -v[28:29]
	v_fma_f64 v[172:173], v[110:111], s[18:19], v[108:109]
	v_fma_f64 v[174:175], v[110:111], s[18:19], -v[108:109]
	v_fma_f64 v[176:177], v[110:111], s[26:27], v[12:13]
	v_fma_f64 v[178:179], v[110:111], s[26:27], -v[12:13]
	v_add_f64 v[22:23], v[146:147], v[14:15]
	v_add_f64 v[14:15], v[146:147], v[32:33]
	;; [unrolled: 1-line block ×11, first 2 shown]
	v_add_f64 v[156:157], v[114:115], -v[42:43]
	v_add_f64 v[12:13], v[148:149], v[160:161]
	v_add_f64 v[28:29], v[148:149], v[164:165]
	;; [unrolled: 1-line block ×9, first 2 shown]
	v_add_f64 v[158:159], v[112:113], -v[40:41]
	v_add_f64 v[172:173], v[122:123], -v[46:47]
	;; [unrolled: 1-line block ×3, first 2 shown]
	v_add_f64 v[112:113], v[140:141], v[112:113]
	v_mul_f64 v[185:186], v[156:157], s[28:29]
	v_mul_f64 v[187:188], v[158:159], s[28:29]
	v_mul_f64 v[189:190], v[172:173], s[30:31]
	v_mul_f64 v[191:192], v[174:175], s[30:31]
	v_add_f64 v[112:113], v[112:113], v[120:121]
	v_fma_f64 v[150:151], v[148:149], s[10:11], -v[185:186]
	v_fma_f64 v[185:186], v[148:149], s[10:11], v[185:186]
	v_add_f64 v[112:113], v[112:113], v[124:125]
	v_add_f64 v[8:9], v[150:151], v[8:9]
	;; [unrolled: 1-line block ×6, first 2 shown]
	v_fma_f64 v[166:167], v[150:151], s[10:11], v[187:188]
	v_fma_f64 v[185:186], v[150:151], s[10:11], -v[187:188]
	v_add_f64 v[114:115], v[114:115], v[122:123]
	v_add_f64 v[112:113], v[112:113], v[132:133]
	;; [unrolled: 1-line block ×7, first 2 shown]
	v_fma_f64 v[170:171], v[166:167], s[0:1], -v[189:190]
	v_fma_f64 v[185:186], v[166:167], s[0:1], v[189:190]
	v_add_f64 v[114:115], v[114:115], v[130:131]
	v_add_f64 v[8:9], v[170:171], v[8:9]
	;; [unrolled: 1-line block ×5, first 2 shown]
	v_fma_f64 v[176:177], v[170:171], s[0:1], v[191:192]
	v_fma_f64 v[185:186], v[170:171], s[0:1], -v[191:192]
	v_add_f64 v[114:115], v[114:115], v[118:119]
	v_add_f64 v[10:11], v[176:177], v[10:11]
	;; [unrolled: 1-line block ×4, first 2 shown]
	v_fma_f64 v[178:179], v[176:177], s[8:9], -v[197:198]
	v_fma_f64 v[185:186], v[176:177], s[8:9], v[197:198]
	v_add_f64 v[8:9], v[178:179], v[8:9]
	v_add_f64 v[178:179], v[126:127], v[50:51]
	;; [unrolled: 1-line block ×3, first 2 shown]
	v_fma_f64 v[193:194], v[178:179], s[8:9], v[199:200]
	v_fma_f64 v[185:186], v[178:179], s[8:9], -v[199:200]
	v_add_f64 v[10:11], v[193:194], v[10:11]
	v_add_f64 v[193:194], v[128:129], v[52:53]
	;; [unrolled: 1-line block ×4, first 2 shown]
	v_fma_f64 v[195:196], v[193:194], s[18:19], -v[207:208]
	v_fma_f64 v[185:186], v[193:194], s[18:19], v[207:208]
	v_add_f64 v[48:49], v[52:53], v[48:49]
	v_add_f64 v[8:9], v[195:196], v[8:9]
	;; [unrolled: 1-line block ×6, first 2 shown]
	v_fma_f64 v[211:212], v[195:196], s[18:19], v[209:210]
	v_fma_f64 v[185:186], v[195:196], s[18:19], -v[209:210]
	v_add_f64 v[50:51], v[54:55], v[50:51]
	v_add_f64 v[40:41], v[44:45], v[40:41]
	v_mov_b32_e32 v44, 0xdd
	v_mul_u32_u24_sdwa v44, v205, v44 dst_sel:DWORD dst_unused:UNUSED_PAD src0_sel:WORD_0 src1_sel:DWORD
	v_add_nc_u32_sdwa v44, v44, v206 dst_sel:DWORD dst_unused:UNUSED_PAD src0_sel:DWORD src1_sel:BYTE_0
	v_add_lshl_u32 v227, v226, v44, 4
	v_add_f64 v[10:11], v[211:212], v[10:11]
	v_add_f64 v[211:212], v[134:135], -v[118:119]
	v_add_f64 v[185:186], v[185:186], v[20:21]
	v_add_f64 v[46:47], v[50:51], v[46:47]
	;; [unrolled: 1-line block ×3, first 2 shown]
	v_mul_f64 v[215:216], v[211:212], s[34:35]
	v_add_f64 v[42:43], v[46:47], v[42:43]
	v_fma_f64 v[217:218], v[213:214], s[26:27], -v[215:216]
	v_fma_f64 v[20:21], v[213:214], s[26:27], v[215:216]
	v_add_f64 v[42:43], v[42:43], v[138:139]
	v_add_f64 v[8:9], v[217:218], v[8:9]
	v_add_f64 v[217:218], v[132:133], -v[116:117]
	v_add_f64 v[20:21], v[20:21], v[22:23]
	v_mul_f64 v[221:222], v[217:218], s[34:35]
	v_fma_f64 v[187:188], v[219:220], s[26:27], -v[221:222]
	v_fma_f64 v[223:224], v[219:220], s[26:27], v[221:222]
	v_mul_f64 v[221:222], v[211:212], s[22:23]
	v_add_f64 v[22:23], v[187:188], v[185:186]
	v_mul_f64 v[185:186], v[156:157], s[20:21]
	v_add_f64 v[10:11], v[223:224], v[10:11]
	v_mul_f64 v[223:224], v[217:218], s[22:23]
	v_fma_f64 v[187:188], v[148:149], s[8:9], -v[185:186]
	v_fma_f64 v[185:186], v[148:149], s[8:9], v[185:186]
	v_add_f64 v[14:15], v[187:188], v[14:15]
	v_mul_f64 v[187:188], v[158:159], s[20:21]
	v_add_f64 v[18:19], v[185:186], v[18:19]
	v_fma_f64 v[189:190], v[150:151], s[8:9], v[187:188]
	v_fma_f64 v[185:186], v[150:151], s[8:9], -v[187:188]
	v_fma_f64 v[187:188], v[219:220], s[16:17], -v[223:224]
	v_add_f64 v[12:13], v[189:190], v[12:13]
	v_mul_f64 v[189:190], v[172:173], s[34:35]
	v_add_f64 v[16:17], v[185:186], v[16:17]
	v_fma_f64 v[191:192], v[166:167], s[26:27], -v[189:190]
	v_fma_f64 v[185:186], v[166:167], s[26:27], v[189:190]
	v_add_f64 v[14:15], v[191:192], v[14:15]
	v_mul_f64 v[191:192], v[174:175], s[34:35]
	v_add_f64 v[18:19], v[185:186], v[18:19]
	v_fma_f64 v[197:198], v[170:171], s[26:27], v[191:192]
	v_fma_f64 v[185:186], v[170:171], s[26:27], -v[191:192]
	v_add_f64 v[12:13], v[197:198], v[12:13]
	v_mul_f64 v[197:198], v[181:182], s[38:39]
	v_add_f64 v[16:17], v[185:186], v[16:17]
	v_fma_f64 v[199:200], v[176:177], s[18:19], -v[197:198]
	v_fma_f64 v[185:186], v[176:177], s[18:19], v[197:198]
	v_add_f64 v[14:15], v[199:200], v[14:15]
	v_mul_f64 v[199:200], v[183:184], s[38:39]
	v_add_f64 v[18:19], v[185:186], v[18:19]
	v_fma_f64 v[207:208], v[178:179], s[18:19], v[199:200]
	v_fma_f64 v[185:186], v[178:179], s[18:19], -v[199:200]
	v_add_f64 v[12:13], v[207:208], v[12:13]
	v_mul_f64 v[207:208], v[201:202], s[36:37]
	v_add_f64 v[16:17], v[185:186], v[16:17]
	v_fma_f64 v[209:210], v[193:194], s[0:1], -v[207:208]
	v_fma_f64 v[185:186], v[193:194], s[0:1], v[207:208]
	v_add_f64 v[14:15], v[209:210], v[14:15]
	v_mul_f64 v[209:210], v[203:204], s[36:37]
	v_add_f64 v[18:19], v[185:186], v[18:19]
	v_fma_f64 v[185:186], v[195:196], s[0:1], -v[209:210]
	v_fma_f64 v[215:216], v[195:196], s[0:1], v[209:210]
	v_add_f64 v[185:186], v[185:186], v[16:17]
	v_fma_f64 v[16:17], v[213:214], s[16:17], v[221:222]
	v_add_f64 v[215:216], v[215:216], v[12:13]
	v_fma_f64 v[12:13], v[213:214], s[16:17], -v[221:222]
	v_mul_f64 v[221:222], v[211:212], s[24:25]
	v_add_f64 v[16:17], v[16:17], v[18:19]
	v_add_f64 v[18:19], v[187:188], v[185:186]
	v_mul_f64 v[185:186], v[156:157], s[34:35]
	v_add_f64 v[12:13], v[12:13], v[14:15]
	v_fma_f64 v[14:15], v[219:220], s[16:17], v[223:224]
	v_mul_f64 v[223:224], v[217:218], s[24:25]
	v_fma_f64 v[187:188], v[148:149], s[26:27], -v[185:186]
	v_fma_f64 v[185:186], v[148:149], s[26:27], v[185:186]
	v_add_f64 v[14:15], v[14:15], v[215:216]
	v_add_f64 v[30:31], v[187:188], v[30:31]
	v_mul_f64 v[187:188], v[158:159], s[34:35]
	v_add_f64 v[110:111], v[185:186], v[110:111]
	s_mov_b32 s35, 0x3fcea1e5
	v_fma_f64 v[189:190], v[150:151], s[26:27], v[187:188]
	v_fma_f64 v[185:186], v[150:151], s[26:27], -v[187:188]
	v_fma_f64 v[187:188], v[219:220], s[18:19], -v[223:224]
	v_add_f64 v[28:29], v[189:190], v[28:29]
	v_mul_f64 v[189:190], v[172:173], s[40:41]
	v_add_f64 v[108:109], v[185:186], v[108:109]
	v_fma_f64 v[191:192], v[166:167], s[8:9], -v[189:190]
	v_fma_f64 v[185:186], v[166:167], s[8:9], v[189:190]
	v_add_f64 v[30:31], v[191:192], v[30:31]
	v_mul_f64 v[191:192], v[174:175], s[40:41]
	v_add_f64 v[110:111], v[185:186], v[110:111]
	v_fma_f64 v[197:198], v[170:171], s[8:9], v[191:192]
	v_fma_f64 v[185:186], v[170:171], s[8:9], -v[191:192]
	v_add_f64 v[28:29], v[197:198], v[28:29]
	v_mul_f64 v[197:198], v[181:182], s[22:23]
	v_add_f64 v[108:109], v[185:186], v[108:109]
	v_fma_f64 v[199:200], v[176:177], s[16:17], -v[197:198]
	v_fma_f64 v[185:186], v[176:177], s[16:17], v[197:198]
	v_add_f64 v[30:31], v[199:200], v[30:31]
	v_mul_f64 v[199:200], v[183:184], s[22:23]
	v_add_f64 v[110:111], v[185:186], v[110:111]
	v_fma_f64 v[207:208], v[178:179], s[16:17], v[199:200]
	v_fma_f64 v[185:186], v[178:179], s[16:17], -v[199:200]
	v_add_f64 v[28:29], v[207:208], v[28:29]
	v_mul_f64 v[207:208], v[201:202], s[28:29]
	v_add_f64 v[108:109], v[185:186], v[108:109]
	v_fma_f64 v[209:210], v[193:194], s[10:11], -v[207:208]
	v_fma_f64 v[185:186], v[193:194], s[10:11], v[207:208]
	v_add_f64 v[30:31], v[209:210], v[30:31]
	v_mul_f64 v[209:210], v[203:204], s[28:29]
	v_add_f64 v[110:111], v[185:186], v[110:111]
	v_fma_f64 v[185:186], v[195:196], s[10:11], -v[209:210]
	v_fma_f64 v[215:216], v[195:196], s[10:11], v[209:210]
	v_add_f64 v[185:186], v[185:186], v[108:109]
	v_fma_f64 v[108:109], v[213:214], s[18:19], v[221:222]
	v_add_f64 v[215:216], v[215:216], v[28:29]
	v_fma_f64 v[28:29], v[213:214], s[18:19], -v[221:222]
	v_add_f64 v[108:109], v[108:109], v[110:111]
	v_add_f64 v[110:111], v[187:188], v[185:186]
	v_mul_f64 v[185:186], v[156:157], s[38:39]
	v_add_f64 v[28:29], v[28:29], v[30:31]
	v_fma_f64 v[30:31], v[219:220], s[18:19], v[223:224]
	v_fma_f64 v[187:188], v[148:149], s[18:19], -v[185:186]
	v_fma_f64 v[185:186], v[148:149], s[18:19], v[185:186]
	v_add_f64 v[30:31], v[30:31], v[215:216]
	v_add_f64 v[38:39], v[187:188], v[38:39]
	v_mul_f64 v[187:188], v[158:159], s[38:39]
	v_add_f64 v[34:35], v[185:186], v[34:35]
	v_fma_f64 v[189:190], v[150:151], s[18:19], v[187:188]
	v_fma_f64 v[185:186], v[150:151], s[18:19], -v[187:188]
	v_add_f64 v[36:37], v[189:190], v[36:37]
	v_mul_f64 v[189:190], v[172:173], s[22:23]
	v_add_f64 v[32:33], v[185:186], v[32:33]
	v_fma_f64 v[191:192], v[166:167], s[16:17], -v[189:190]
	v_fma_f64 v[185:186], v[166:167], s[16:17], v[189:190]
	v_mul_f64 v[189:190], v[156:157], s[36:37]
	v_mul_f64 v[156:157], v[156:157], s[22:23]
	v_add_f64 v[38:39], v[191:192], v[38:39]
	v_mul_f64 v[191:192], v[174:175], s[22:23]
	v_add_f64 v[34:35], v[185:186], v[34:35]
	v_fma_f64 v[197:198], v[170:171], s[16:17], v[191:192]
	v_fma_f64 v[185:186], v[170:171], s[16:17], -v[191:192]
	v_mul_f64 v[191:192], v[158:159], s[36:37]
	v_mul_f64 v[158:159], v[158:159], s[22:23]
	v_add_f64 v[36:37], v[197:198], v[36:37]
	v_mul_f64 v[197:198], v[181:182], s[30:31]
	v_add_f64 v[32:33], v[185:186], v[32:33]
	v_fma_f64 v[199:200], v[176:177], s[0:1], -v[197:198]
	v_fma_f64 v[185:186], v[176:177], s[0:1], v[197:198]
	v_mul_f64 v[197:198], v[172:173], s[28:29]
	v_add_f64 v[38:39], v[199:200], v[38:39]
	v_mul_f64 v[199:200], v[183:184], s[30:31]
	v_add_f64 v[34:35], v[185:186], v[34:35]
	s_mov_b32 s31, 0x3fea55e2
	s_mov_b32 s30, s28
	v_mul_f64 v[221:222], v[211:212], s[30:31]
	v_mul_f64 v[223:224], v[217:218], s[30:31]
	v_fma_f64 v[207:208], v[178:179], s[0:1], v[199:200]
	v_fma_f64 v[185:186], v[178:179], s[0:1], -v[199:200]
	v_mul_f64 v[199:200], v[174:175], s[28:29]
	v_fma_f64 v[187:188], v[219:220], s[10:11], -v[223:224]
	v_add_f64 v[36:37], v[207:208], v[36:37]
	v_mul_f64 v[207:208], v[201:202], s[34:35]
	v_add_f64 v[32:33], v[185:186], v[32:33]
	v_fma_f64 v[209:210], v[193:194], s[26:27], -v[207:208]
	v_fma_f64 v[185:186], v[193:194], s[26:27], v[207:208]
	v_mul_f64 v[207:208], v[181:182], s[34:35]
	v_add_f64 v[38:39], v[209:210], v[38:39]
	v_mul_f64 v[209:210], v[203:204], s[34:35]
	v_add_f64 v[34:35], v[185:186], v[34:35]
	v_fma_f64 v[185:186], v[195:196], s[26:27], -v[209:210]
	v_fma_f64 v[215:216], v[195:196], s[26:27], v[209:210]
	v_mul_f64 v[209:210], v[183:184], s[34:35]
	v_add_f64 v[185:186], v[185:186], v[32:33]
	v_fma_f64 v[32:33], v[213:214], s[10:11], v[221:222]
	v_add_f64 v[215:216], v[215:216], v[36:37]
	v_fma_f64 v[36:37], v[213:214], s[10:11], -v[221:222]
	v_mul_f64 v[221:222], v[203:204], s[22:23]
	v_add_f64 v[32:33], v[32:33], v[34:35]
	v_add_f64 v[34:35], v[187:188], v[185:186]
	v_fma_f64 v[185:186], v[148:149], s[0:1], -v[189:190]
	v_add_f64 v[36:37], v[36:37], v[38:39]
	v_fma_f64 v[38:39], v[219:220], s[10:11], v[223:224]
	v_mul_f64 v[223:224], v[211:212], s[20:21]
	v_add_f64 v[168:169], v[185:186], v[168:169]
	v_fma_f64 v[185:186], v[150:151], s[0:1], v[191:192]
	v_add_f64 v[38:39], v[38:39], v[215:216]
	v_mul_f64 v[215:216], v[201:202], s[22:23]
	v_add_f64 v[164:165], v[185:186], v[164:165]
	v_fma_f64 v[185:186], v[166:167], s[10:11], -v[197:198]
	v_add_f64 v[168:169], v[185:186], v[168:169]
	v_fma_f64 v[185:186], v[170:171], s[10:11], v[199:200]
	v_add_f64 v[164:165], v[185:186], v[164:165]
	v_fma_f64 v[185:186], v[176:177], s[26:27], -v[207:208]
	v_add_f64 v[168:169], v[185:186], v[168:169]
	v_fma_f64 v[185:186], v[178:179], s[26:27], v[209:210]
	;; [unrolled: 4-line block ×3, first 2 shown]
	v_add_f64 v[164:165], v[185:186], v[164:165]
	v_fma_f64 v[185:186], v[213:214], s[8:9], -v[223:224]
	v_add_f64 v[185:186], v[185:186], v[168:169]
	v_mul_f64 v[168:169], v[217:218], s[20:21]
	v_fma_f64 v[187:188], v[219:220], s[8:9], v[168:169]
	v_fma_f64 v[168:169], v[219:220], s[8:9], -v[168:169]
	v_add_f64 v[187:188], v[187:188], v[164:165]
	v_fma_f64 v[164:165], v[148:149], s[0:1], v[189:190]
	v_add_f64 v[162:163], v[164:165], v[162:163]
	v_fma_f64 v[164:165], v[150:151], s[0:1], -v[191:192]
	v_mul_f64 v[191:192], v[211:212], s[36:37]
	v_add_f64 v[160:161], v[164:165], v[160:161]
	v_fma_f64 v[164:165], v[166:167], s[10:11], v[197:198]
	v_mul_f64 v[197:198], v[217:218], s[36:37]
	v_add_f64 v[162:163], v[164:165], v[162:163]
	v_fma_f64 v[164:165], v[170:171], s[10:11], -v[199:200]
	v_add_f64 v[160:161], v[164:165], v[160:161]
	v_fma_f64 v[164:165], v[176:177], s[26:27], v[207:208]
	v_add_f64 v[162:163], v[164:165], v[162:163]
	v_fma_f64 v[164:165], v[178:179], s[26:27], -v[209:210]
	v_add_f64 v[160:161], v[164:165], v[160:161]
	v_fma_f64 v[164:165], v[193:194], s[16:17], v[215:216]
	;; [unrolled: 4-line block ×3, first 2 shown]
	v_add_f64 v[160:161], v[160:161], v[162:163]
	v_add_f64 v[162:163], v[168:169], v[164:165]
	v_fma_f64 v[164:165], v[148:149], s[16:17], -v[156:157]
	v_fma_f64 v[148:149], v[148:149], s[16:17], v[156:157]
	v_add_f64 v[154:155], v[164:165], v[154:155]
	v_fma_f64 v[164:165], v[150:151], s[16:17], v[158:159]
	v_fma_f64 v[150:151], v[150:151], s[16:17], -v[158:159]
	v_add_f64 v[146:147], v[148:149], v[146:147]
	v_add_f64 v[152:153], v[164:165], v[152:153]
	v_mul_f64 v[164:165], v[172:173], s[24:25]
	v_add_f64 v[144:145], v[150:151], v[144:145]
	v_fma_f64 v[168:169], v[166:167], s[18:19], -v[164:165]
	v_fma_f64 v[156:157], v[166:167], s[18:19], v[164:165]
	v_add_f64 v[154:155], v[168:169], v[154:155]
	v_mul_f64 v[168:169], v[174:175], s[24:25]
	v_add_f64 v[146:147], v[156:157], v[146:147]
	v_fma_f64 v[172:173], v[170:171], s[18:19], v[168:169]
	v_fma_f64 v[158:159], v[170:171], s[18:19], -v[168:169]
	v_add_f64 v[152:153], v[172:173], v[152:153]
	v_mul_f64 v[172:173], v[181:182], s[30:31]
	v_add_f64 v[144:145], v[158:159], v[144:145]
	v_fma_f64 v[174:175], v[176:177], s[10:11], -v[172:173]
	v_fma_f64 v[148:149], v[176:177], s[10:11], v[172:173]
	v_add_f64 v[154:155], v[174:175], v[154:155]
	v_mul_f64 v[174:175], v[183:184], s[30:31]
	v_add_f64 v[146:147], v[148:149], v[146:147]
	v_fma_f64 v[148:149], v[213:214], s[0:1], v[191:192]
	v_fma_f64 v[181:182], v[178:179], s[10:11], v[174:175]
	v_fma_f64 v[150:151], v[178:179], s[10:11], -v[174:175]
	v_add_f64 v[152:153], v[181:182], v[152:153]
	v_mul_f64 v[181:182], v[201:202], s[20:21]
	v_add_f64 v[144:145], v[150:151], v[144:145]
	v_fma_f64 v[150:151], v[219:220], s[0:1], -v[197:198]
	v_fma_f64 v[183:184], v[193:194], s[8:9], -v[181:182]
	v_fma_f64 v[156:157], v[193:194], s[8:9], v[181:182]
	v_add_f64 v[154:155], v[183:184], v[154:155]
	v_mul_f64 v[183:184], v[203:204], s[20:21]
	v_add_f64 v[146:147], v[156:157], v[146:147]
	v_fma_f64 v[189:190], v[195:196], s[8:9], v[183:184]
	v_fma_f64 v[158:159], v[195:196], s[8:9], -v[183:184]
	v_add_f64 v[189:190], v[189:190], v[152:153]
	v_fma_f64 v[152:153], v[213:214], s[0:1], -v[191:192]
	v_add_f64 v[156:157], v[158:159], v[144:145]
	v_add_f64 v[144:145], v[148:149], v[146:147]
	;; [unrolled: 1-line block ×3, first 2 shown]
	v_fma_f64 v[154:155], v[219:220], s[0:1], v[197:198]
	v_add_f64 v[146:147], v[150:151], v[156:157]
	v_cmp_gt_u16_e64 s0, 51, v225
	v_add_f64 v[154:155], v[154:155], v[189:190]
	ds_write_b128 v227, v[8:11] offset:272
	ds_write_b128 v227, v[12:15] offset:544
	;; [unrolled: 1-line block ×12, first 2 shown]
	ds_write_b128 v227, v[40:43]
	s_waitcnt lgkmcnt(0)
	s_barrier
	buffer_gl0_inv
	ds_read_b128 v[112:115], v255
	ds_read_b128 v[40:43], v255 offset:3536
	ds_read_b128 v[44:47], v255 offset:7072
	;; [unrolled: 1-line block ×9, first 2 shown]
	s_and_saveexec_b32 s1, s0
	s_cbranch_execz .LBB0_9
; %bb.8:
	ds_read_b128 v[108:111], v255 offset:2720
	ds_read_b128 v[16:19], v255 offset:6256
	;; [unrolled: 1-line block ×5, first 2 shown]
.LBB0_9:
	s_or_b32 exec_lo, exec_lo, s1
	buffer_load_dword v187, off, s[60:63], 0 ; 4-byte Folded Reload
	s_mov_b32 s16, 0x134454ff
	s_mov_b32 s17, 0x3fee6f0e
	;; [unrolled: 1-line block ×7, first 2 shown]
	s_waitcnt vmcnt(0)
	v_lshlrev_b32_e32 v14, 6, v187
	v_add_co_u32 v15, s1, s2, v14
	v_add_co_ci_u32_e64 v118, null, s3, 0, s1
	v_add_co_u32 v12, s1, 0x800, v15
	v_add_co_ci_u32_e64 v13, s1, 0, v118, s1
	global_load_dwordx4 v[119:122], v[12:13], off offset:1216
	v_add_nc_u32_e32 v12, 0x1540, v14
	s_waitcnt vmcnt(0) lgkmcnt(8)
	v_mul_f64 v[116:117], v[42:43], v[121:122]
	v_fma_f64 v[126:127], v[40:41], v[119:120], -v[116:117]
	v_mul_f64 v[40:41], v[40:41], v[121:122]
	buffer_store_dword v119, off, s[60:63], 0 offset:36 ; 4-byte Folded Spill
	buffer_store_dword v120, off, s[60:63], 0 offset:40 ; 4-byte Folded Spill
	;; [unrolled: 1-line block ×4, first 2 shown]
	v_add_co_u32 v116, s1, 0xcc0, v15
	v_add_co_ci_u32_e64 v117, s1, 0, v118, s1
	v_add_co_u32 v12, s1, s2, v12
	v_add_co_ci_u32_e64 v13, null, s3, 0, s1
	v_fma_f64 v[124:125], v[42:43], v[119:120], v[40:41]
	global_load_dwordx4 v[40:43], v[116:117], off offset:16
	s_waitcnt vmcnt(0) lgkmcnt(7)
	v_mul_f64 v[118:119], v[46:47], v[42:43]
	v_fma_f64 v[152:153], v[44:45], v[40:41], -v[118:119]
	v_mul_f64 v[44:45], v[44:45], v[42:43]
	v_fma_f64 v[154:155], v[46:47], v[40:41], v[44:45]
	global_load_dwordx4 v[44:47], v[116:117], off offset:32
	s_waitcnt vmcnt(0) lgkmcnt(6)
	v_mul_f64 v[118:119], v[54:55], v[46:47]
	v_fma_f64 v[148:149], v[52:53], v[44:45], -v[118:119]
	v_mul_f64 v[52:53], v[52:53], v[46:47]
	v_add_f64 v[183:184], v[152:153], -v[148:149]
	v_fma_f64 v[128:129], v[54:55], v[44:45], v[52:53]
	global_load_dwordx4 v[52:55], v[116:117], off offset:48
	v_add_f64 v[120:121], v[154:155], v[128:129]
	v_add_f64 v[178:179], v[154:155], -v[128:129]
	v_fma_f64 v[158:159], v[120:121], -0.5, v[114:115]
	s_waitcnt vmcnt(0) lgkmcnt(5)
	v_mul_f64 v[116:117], v[28:29], v[54:55]
	v_fma_f64 v[130:131], v[30:31], v[52:53], v[116:117]
	v_mul_f64 v[30:31], v[30:31], v[54:55]
	v_add_f64 v[176:177], v[124:125], -v[130:131]
	v_fma_f64 v[150:151], v[28:29], v[52:53], -v[30:31]
	v_add_co_u32 v28, s1, 0x800, v12
	v_add_co_ci_u32_e64 v29, s1, 0, v13, s1
	global_load_dwordx4 v[28:31], v[28:29], off offset:1216
	v_add_f64 v[181:182], v[126:127], -v[150:151]
	v_fma_f64 v[122:123], v[181:182], s[18:19], v[158:159]
	v_fma_f64 v[158:159], v[181:182], s[16:17], v[158:159]
	s_waitcnt vmcnt(0) lgkmcnt(3)
	v_mul_f64 v[116:117], v[34:35], v[30:31]
	v_fma_f64 v[138:139], v[32:33], v[28:29], -v[116:117]
	v_add_co_u32 v116, s1, 0xcc0, v12
	v_add_co_ci_u32_e64 v117, s1, 0, v13, s1
	v_mul_f64 v[32:33], v[32:33], v[30:31]
	buffer_store_dword v28, off, s[60:63], 0 offset:52 ; 4-byte Folded Spill
	buffer_store_dword v29, off, s[60:63], 0 offset:56 ; 4-byte Folded Spill
	buffer_store_dword v30, off, s[60:63], 0 offset:60 ; 4-byte Folded Spill
	buffer_store_dword v31, off, s[60:63], 0 offset:64 ; 4-byte Folded Spill
	global_load_dwordx4 v[12:15], v[116:117], off offset:16
	v_fma_f64 v[136:137], v[34:35], v[28:29], v[32:33]
	s_waitcnt vmcnt(0) lgkmcnt(2)
	v_mul_f64 v[118:119], v[38:39], v[14:15]
	v_fma_f64 v[146:147], v[36:37], v[12:13], -v[118:119]
	v_mul_f64 v[36:37], v[36:37], v[14:15]
	buffer_store_dword v12, off, s[60:63], 0 offset:68 ; 4-byte Folded Spill
	buffer_store_dword v13, off, s[60:63], 0 offset:72 ; 4-byte Folded Spill
	;; [unrolled: 1-line block ×4, first 2 shown]
	v_fma_f64 v[142:143], v[38:39], v[12:13], v[36:37]
	global_load_dwordx4 v[36:39], v[116:117], off offset:32
	s_waitcnt vmcnt(0) lgkmcnt(1)
	v_mul_f64 v[118:119], v[50:51], v[38:39]
	v_fma_f64 v[144:145], v[48:49], v[36:37], -v[118:119]
	v_mul_f64 v[48:49], v[48:49], v[38:39]
	v_fma_f64 v[140:141], v[50:51], v[36:37], v[48:49]
	global_load_dwordx4 v[48:51], v[116:117], off offset:48
	s_waitcnt vmcnt(0) lgkmcnt(0)
	v_mul_f64 v[116:117], v[10:11], v[50:51]
	v_fma_f64 v[156:157], v[8:9], v[48:49], -v[116:117]
	v_mul_f64 v[8:9], v[8:9], v[50:51]
	v_fma_f64 v[174:175], v[10:11], v[48:49], v[8:9]
	v_add_co_u32 v8, s1, 0xaa, v187
	v_add_co_u32 v9, s8, 0xffffffcd, v187
	v_add_co_ci_u32_e64 v10, null, 0, -1, s8
	v_cndmask_b32_e64 v8, v9, v8, s0
	v_add_co_ci_u32_e64 v9, null, 0, 0, s1
	v_cndmask_b32_e64 v9, v10, v9, s0
	v_lshlrev_b64 v[8:9], 6, v[8:9]
	v_add_co_u32 v10, s1, s2, v8
	v_add_co_ci_u32_e64 v11, s1, s3, v9, s1
	s_mov_b32 s2, 0x4755a5e
	v_add_co_u32 v8, s1, 0x800, v10
	v_add_co_ci_u32_e64 v9, s1, 0, v11, s1
	s_mov_b32 s3, 0x3fe2cf23
	s_mov_b32 s8, s2
	v_fma_f64 v[158:159], v[183:184], s[2:3], v[158:159]
	global_load_dwordx4 v[12:15], v[8:9], off offset:1216
	v_fma_f64 v[122:123], v[183:184], s[8:9], v[122:123]
	s_waitcnt vmcnt(0)
	v_mul_f64 v[116:117], v[18:19], v[14:15]
	v_fma_f64 v[162:163], v[16:17], v[12:13], -v[116:117]
	v_add_co_u32 v116, s1, 0xcc0, v10
	v_add_co_ci_u32_e64 v117, s1, 0, v11, s1
	v_mul_f64 v[16:17], v[16:17], v[14:15]
	buffer_store_dword v12, off, s[60:63], 0 offset:84 ; 4-byte Folded Spill
	buffer_store_dword v13, off, s[60:63], 0 offset:88 ; 4-byte Folded Spill
	;; [unrolled: 1-line block ×4, first 2 shown]
	global_load_dwordx4 v[8:11], v[116:117], off offset:16
	v_fma_f64 v[160:161], v[18:19], v[12:13], v[16:17]
	s_waitcnt vmcnt(0)
	v_mul_f64 v[118:119], v[22:23], v[10:11]
	v_fma_f64 v[172:173], v[20:21], v[8:9], -v[118:119]
	v_mul_f64 v[20:21], v[20:21], v[10:11]
	buffer_store_dword v8, off, s[60:63], 0 offset:100 ; 4-byte Folded Spill
	buffer_store_dword v9, off, s[60:63], 0 offset:104 ; 4-byte Folded Spill
	;; [unrolled: 1-line block ×4, first 2 shown]
	v_fma_f64 v[166:167], v[22:23], v[8:9], v[20:21]
	global_load_dwordx4 v[8:11], v[116:117], off offset:32
	s_waitcnt vmcnt(0)
	v_mul_f64 v[118:119], v[26:27], v[10:11]
	v_fma_f64 v[168:169], v[24:25], v[8:9], -v[118:119]
	v_mul_f64 v[24:25], v[24:25], v[10:11]
	buffer_store_dword v8, off, s[60:63], 0 offset:116 ; 4-byte Folded Spill
	buffer_store_dword v9, off, s[60:63], 0 offset:120 ; 4-byte Folded Spill
	;; [unrolled: 1-line block ×4, first 2 shown]
	v_add_f64 v[118:119], v[130:131], -v[128:129]
	v_fma_f64 v[164:165], v[26:27], v[8:9], v[24:25]
	global_load_dwordx4 v[8:11], v[116:117], off offset:48
	s_waitcnt vmcnt(0)
	v_mul_f64 v[116:117], v[106:107], v[10:11]
	v_fma_f64 v[170:171], v[104:105], v[8:9], -v[116:117]
	v_mul_f64 v[104:105], v[104:105], v[10:11]
	buffer_store_dword v8, off, s[60:63], 0 offset:132 ; 4-byte Folded Spill
	buffer_store_dword v9, off, s[60:63], 0 offset:136 ; 4-byte Folded Spill
	;; [unrolled: 1-line block ×4, first 2 shown]
	v_add_f64 v[116:117], v[150:151], -v[148:149]
	v_fma_f64 v[104:105], v[106:107], v[8:9], v[104:105]
	v_add_f64 v[106:107], v[126:127], -v[152:153]
	buffer_load_dword v9, off, s[60:63], 0 offset:8 ; 4-byte Folded Reload
	v_lshlrev_b32_e32 v8, 4, v187
	v_add_f64 v[106:107], v[106:107], v[116:117]
	v_add_f64 v[116:117], v[124:125], -v[154:155]
	v_add_f64 v[118:119], v[116:117], v[118:119]
	v_add_f64 v[116:117], v[152:153], v[148:149]
	v_fma_f64 v[122:123], v[118:119], s[10:11], v[122:123]
	v_fma_f64 v[116:117], v[116:117], -0.5, v[112:113]
	v_fma_f64 v[118:119], v[118:119], s[10:11], v[158:159]
	v_add_f64 v[158:159], v[124:125], v[130:131]
	v_fma_f64 v[120:121], v[176:177], s[16:17], v[116:117]
	v_fma_f64 v[116:117], v[176:177], s[18:19], v[116:117]
	v_fma_f64 v[158:159], v[158:159], -0.5, v[114:115]
	v_add_f64 v[114:115], v[114:115], v[124:125]
	v_add_f64 v[124:125], v[154:155], -v[124:125]
	v_fma_f64 v[120:121], v[178:179], s[2:3], v[120:121]
	v_fma_f64 v[116:117], v[178:179], s[8:9], v[116:117]
	v_add_f64 v[114:115], v[114:115], v[154:155]
	v_fma_f64 v[120:121], v[106:107], s[10:11], v[120:121]
	v_fma_f64 v[116:117], v[106:107], s[10:11], v[116:117]
	v_add_f64 v[106:107], v[126:127], v[150:151]
	v_add_f64 v[114:115], v[114:115], v[128:129]
	v_add_f64 v[128:129], v[128:129], -v[130:131]
	v_fma_f64 v[106:107], v[106:107], -0.5, v[112:113]
	v_add_f64 v[112:113], v[112:113], v[126:127]
	v_add_f64 v[126:127], v[152:153], -v[126:127]
	v_add_f64 v[114:115], v[114:115], v[130:131]
	v_add_f64 v[124:125], v[124:125], v[128:129]
	v_fma_f64 v[130:131], v[178:179], s[18:19], v[106:107]
	v_add_f64 v[112:113], v[112:113], v[152:153]
	v_fma_f64 v[106:107], v[178:179], s[16:17], v[106:107]
	v_fma_f64 v[152:153], v[183:184], s[18:19], v[158:159]
	v_add_f64 v[178:179], v[142:143], -v[140:141]
	v_fma_f64 v[128:129], v[176:177], s[2:3], v[130:131]
	v_add_f64 v[112:113], v[112:113], v[148:149]
	v_add_f64 v[148:149], v[148:149], -v[150:151]
	v_fma_f64 v[106:107], v[176:177], s[8:9], v[106:107]
	v_add_f64 v[176:177], v[136:137], -v[174:175]
	v_add_f64 v[112:113], v[112:113], v[150:151]
	v_fma_f64 v[150:151], v[183:184], s[16:17], v[158:159]
	v_add_f64 v[126:127], v[126:127], v[148:149]
	v_add_f64 v[183:184], v[146:147], -v[144:145]
	v_fma_f64 v[130:131], v[181:182], s[8:9], v[150:151]
	v_fma_f64 v[150:151], v[181:182], s[2:3], v[152:153]
	;; [unrolled: 1-line block ×3, first 2 shown]
	v_add_f64 v[106:107], v[138:139], -v[146:147]
	v_fma_f64 v[152:153], v[126:127], s[10:11], v[128:129]
	v_add_f64 v[126:127], v[174:175], -v[140:141]
	v_add_f64 v[128:129], v[142:143], v[140:141]
	v_add_f64 v[181:182], v[138:139], -v[156:157]
	v_fma_f64 v[154:155], v[124:125], s[10:11], v[130:131]
	v_fma_f64 v[150:151], v[124:125], s[10:11], v[150:151]
	v_add_f64 v[124:125], v[156:157], -v[144:145]
	v_fma_f64 v[158:159], v[128:129], -0.5, v[134:135]
	v_add_f64 v[106:107], v[106:107], v[124:125]
	v_add_f64 v[124:125], v[136:137], -v[142:143]
	v_fma_f64 v[130:131], v[181:182], s[18:19], v[158:159]
	v_fma_f64 v[158:159], v[181:182], s[16:17], v[158:159]
	v_add_f64 v[126:127], v[124:125], v[126:127]
	v_add_f64 v[124:125], v[146:147], v[144:145]
	v_fma_f64 v[130:131], v[183:184], s[8:9], v[130:131]
	v_fma_f64 v[158:159], v[183:184], s[2:3], v[158:159]
	s_waitcnt vmcnt(0)
	v_lshl_add_u32 v228, v187, 4, v9
	v_add_nc_u32_e32 v233, v8, v9
	v_fma_f64 v[124:125], v[124:125], -0.5, v[132:133]
	v_fma_f64 v[130:131], v[126:127], s[10:11], v[130:131]
	v_fma_f64 v[126:127], v[126:127], s[10:11], v[158:159]
	v_add_f64 v[158:159], v[136:137], v[174:175]
	v_fma_f64 v[128:129], v[176:177], s[16:17], v[124:125]
	v_fma_f64 v[124:125], v[176:177], s[18:19], v[124:125]
	v_fma_f64 v[185:186], v[158:159], -0.5, v[134:135]
	v_add_f64 v[134:135], v[134:135], v[136:137]
	v_add_f64 v[136:137], v[142:143], -v[136:137]
	v_fma_f64 v[128:129], v[178:179], s[2:3], v[128:129]
	v_fma_f64 v[124:125], v[178:179], s[8:9], v[124:125]
	v_add_f64 v[134:135], v[134:135], v[142:143]
	v_add_f64 v[142:143], v[144:145], -v[156:157]
	v_fma_f64 v[128:129], v[106:107], s[10:11], v[128:129]
	v_fma_f64 v[124:125], v[106:107], s[10:11], v[124:125]
	v_add_f64 v[106:107], v[138:139], v[156:157]
	v_add_f64 v[134:135], v[134:135], v[140:141]
	v_fma_f64 v[106:107], v[106:107], -0.5, v[132:133]
	v_add_f64 v[132:133], v[132:133], v[138:139]
	v_add_f64 v[138:139], v[146:147], -v[138:139]
	v_add_f64 v[158:159], v[134:135], v[174:175]
	v_fma_f64 v[134:135], v[178:179], s[18:19], v[106:107]
	v_add_f64 v[132:133], v[132:133], v[146:147]
	v_fma_f64 v[106:107], v[178:179], s[16:17], v[106:107]
	v_add_f64 v[138:139], v[138:139], v[142:143]
	v_add_f64 v[178:179], v[166:167], -v[164:165]
	v_fma_f64 v[134:135], v[176:177], s[2:3], v[134:135]
	v_add_f64 v[132:133], v[132:133], v[144:145]
	v_fma_f64 v[144:145], v[183:184], s[18:19], v[185:186]
	v_fma_f64 v[106:107], v[176:177], s[8:9], v[106:107]
	v_add_f64 v[176:177], v[160:161], -v[104:105]
	v_add_f64 v[156:157], v[132:133], v[156:157]
	v_add_f64 v[132:133], v[140:141], -v[174:175]
	v_fma_f64 v[140:141], v[183:184], s[16:17], v[185:186]
	v_fma_f64 v[144:145], v[181:182], s[2:3], v[144:145]
	v_add_f64 v[183:184], v[172:173], -v[168:169]
	v_add_f64 v[185:186], v[172:173], -v[162:163]
	ds_write_b128 v228, v[112:115]
	ds_write_b128 v228, v[120:123] offset:3536
	ds_write_b128 v228, v[152:155] offset:7072
	;; [unrolled: 1-line block ×5, first 2 shown]
	v_add_f64 v[132:133], v[136:137], v[132:133]
	v_fma_f64 v[136:137], v[181:182], s[8:9], v[140:141]
	v_fma_f64 v[140:141], v[138:139], s[10:11], v[134:135]
	v_add_f64 v[134:135], v[104:105], -v[164:165]
	v_add_f64 v[181:182], v[162:163], -v[170:171]
	v_fma_f64 v[142:143], v[132:133], s[10:11], v[136:137]
	v_fma_f64 v[136:137], v[138:139], s[10:11], v[106:107]
	;; [unrolled: 1-line block ×3, first 2 shown]
	v_add_f64 v[106:107], v[162:163], -v[172:173]
	v_add_f64 v[132:133], v[170:171], -v[168:169]
	v_add_f64 v[144:145], v[166:167], v[164:165]
	ds_write_b128 v233, v[128:131] offset:4896
	ds_write_b128 v233, v[140:143] offset:8432
	;; [unrolled: 1-line block ×4, first 2 shown]
	v_add_f64 v[106:107], v[106:107], v[132:133]
	v_add_f64 v[132:133], v[160:161], -v[166:167]
	v_fma_f64 v[174:175], v[144:145], -0.5, v[110:111]
	v_add_f64 v[134:135], v[132:133], v[134:135]
	v_add_f64 v[132:133], v[172:173], v[168:169]
	v_fma_f64 v[146:147], v[181:182], s[18:19], v[174:175]
	v_fma_f64 v[174:175], v[181:182], s[16:17], v[174:175]
	v_fma_f64 v[132:133], v[132:133], -0.5, v[108:109]
	v_fma_f64 v[146:147], v[183:184], s[8:9], v[146:147]
	v_fma_f64 v[174:175], v[183:184], s[2:3], v[174:175]
	;; [unrolled: 1-line block ×6, first 2 shown]
	v_add_f64 v[174:175], v[160:161], v[104:105]
	v_fma_f64 v[144:145], v[178:179], s[2:3], v[144:145]
	v_fma_f64 v[132:133], v[178:179], s[8:9], v[132:133]
	v_fma_f64 v[174:175], v[174:175], -0.5, v[110:111]
	v_add_f64 v[110:111], v[110:111], v[160:161]
	v_fma_f64 v[144:145], v[106:107], s[10:11], v[144:145]
	v_fma_f64 v[132:133], v[106:107], s[10:11], v[132:133]
	v_add_f64 v[106:107], v[162:163], v[170:171]
	v_add_f64 v[110:111], v[110:111], v[166:167]
	v_add_f64 v[166:167], v[166:167], -v[160:161]
	v_fma_f64 v[106:107], v[106:107], -0.5, v[108:109]
	v_add_f64 v[108:109], v[108:109], v[162:163]
	v_add_f64 v[110:111], v[110:111], v[164:165]
	;; [unrolled: 1-line block ×4, first 2 shown]
	v_add_f64 v[104:105], v[164:165], -v[104:105]
	v_fma_f64 v[110:111], v[183:184], s[16:17], v[174:175]
	v_fma_f64 v[164:165], v[183:184], s[18:19], v[174:175]
	v_add_f64 v[108:109], v[108:109], v[168:169]
	v_add_f64 v[168:169], v[168:169], -v[170:171]
	v_add_f64 v[104:105], v[166:167], v[104:105]
	v_fma_f64 v[110:111], v[181:182], s[8:9], v[110:111]
	v_fma_f64 v[166:167], v[181:182], s[2:3], v[164:165]
	v_add_f64 v[160:161], v[108:109], v[170:171]
	v_fma_f64 v[108:109], v[178:179], s[18:19], v[106:107]
	v_fma_f64 v[106:107], v[178:179], s[16:17], v[106:107]
	v_add_f64 v[172:173], v[185:186], v[168:169]
	v_fma_f64 v[170:171], v[104:105], s[10:11], v[110:111]
	v_fma_f64 v[166:167], v[104:105], s[10:11], v[166:167]
	v_fma_f64 v[108:109], v[176:177], s[2:3], v[108:109]
	v_fma_f64 v[106:107], v[176:177], s[8:9], v[106:107]
	;; [unrolled: 1-line block ×4, first 2 shown]
	s_and_saveexec_b32 s1, s0
	s_cbranch_execz .LBB0_11
; %bb.10:
	ds_write_b128 v228, v[160:163] offset:2720
	ds_write_b128 v228, v[144:147] offset:6256
	;; [unrolled: 1-line block ×5, first 2 shown]
.LBB0_11:
	s_or_b32 exec_lo, exec_lo, s1
	s_waitcnt lgkmcnt(0)
	s_waitcnt_vscnt null, 0x0
	s_barrier
	buffer_gl0_inv
	s_and_saveexec_b32 s2, vcc_lo
	s_cbranch_execz .LBB0_13
; %bb.12:
	buffer_load_dword v8, off, s[60:63], 0  ; 4-byte Folded Reload
	s_waitcnt vmcnt(0)
	v_lshlrev_b32_e32 v8, 4, v8
	v_add_co_u32 v181, s1, s12, v8
	v_add_co_ci_u32_e64 v182, null, s13, 0, s1
	v_add_co_u32 v104, s1, 0x4000, v181
	v_add_co_ci_u32_e64 v105, s1, 0, v182, s1
	global_load_dwordx4 v[106:109], v[104:105], off offset:1296
	v_add_co_u32 v104, s1, 0x4510, v181
	v_add_co_ci_u32_e64 v105, s1, 0, v182, s1
	global_load_dwordx4 v[172:175], v[104:105], off offset:1040
	;; [unrolled: 3-line block ×3, first 2 shown]
	v_add_co_u32 v104, s1, 0x5000, v181
	v_add_co_ci_u32_e64 v105, s1, 0, v182, s1
	s_clause 0x1
	global_load_dwordx4 v[183:186], v[104:105], off offset:320
	global_load_dwordx4 v[187:190], v[104:105], off offset:1360
	v_add_co_u32 v104, s1, 0x5800, v181
	v_add_co_ci_u32_e64 v105, s1, 0, v182, s1
	s_clause 0x1
	global_load_dwordx4 v[191:194], v[104:105], off offset:352
	global_load_dwordx4 v[195:198], v[104:105], off offset:1392
	;; [unrolled: 5-line block ×3, first 2 shown]
	v_add_co_u32 v110, s1, 0x6800, v181
	v_add_co_ci_u32_e64 v111, s1, 0, v182, s1
	ds_read_b128 v[207:210], v228
	ds_read_b128 v[215:218], v228 offset:1040
	ds_read_b128 v[219:222], v228 offset:2080
	;; [unrolled: 1-line block ×3, first 2 shown]
	global_load_dwordx4 v[211:214], v[110:111], off offset:416
	ds_read_b128 v[234:237], v228 offset:13520
	ds_read_b128 v[238:241], v228 offset:14560
	;; [unrolled: 1-line block ×4, first 2 shown]
	s_waitcnt vmcnt(9) lgkmcnt(7)
	v_mul_f64 v[104:105], v[209:210], v[108:109]
	v_mul_f64 v[108:109], v[207:208], v[108:109]
	s_waitcnt vmcnt(8) lgkmcnt(6)
	v_mul_f64 v[229:230], v[217:218], v[174:175]
	v_mul_f64 v[174:175], v[215:216], v[174:175]
	s_waitcnt vmcnt(7) lgkmcnt(5)
	v_mul_f64 v[231:232], v[221:222], v[178:179]
	v_fma_f64 v[104:105], v[207:208], v[106:107], -v[104:105]
	v_fma_f64 v[106:107], v[209:210], v[106:107], v[108:109]
	global_load_dwordx4 v[207:210], v[110:111], off offset:1456
	v_fma_f64 v[108:109], v[215:216], v[172:173], -v[229:230]
	v_fma_f64 v[110:111], v[217:218], v[172:173], v[174:175]
	v_mul_f64 v[174:175], v[219:220], v[178:179]
	s_waitcnt vmcnt(7) lgkmcnt(4)
	v_mul_f64 v[178:179], v[225:226], v[185:186]
	v_mul_f64 v[185:186], v[223:224], v[185:186]
	ds_read_b128 v[215:218], v228 offset:4160
	v_add_co_u32 v229, s1, 0x7000, v181
	v_add_co_ci_u32_e64 v230, s1, 0, v182, s1
	v_fma_f64 v[172:173], v[219:220], v[176:177], -v[231:232]
	v_fma_f64 v[174:175], v[221:222], v[176:177], v[174:175]
	global_load_dwordx4 v[219:222], v[229:230], off offset:448
	v_fma_f64 v[176:177], v[223:224], v[183:184], -v[178:179]
	v_fma_f64 v[178:179], v[225:226], v[183:184], v[185:186]
	ds_read_b128 v[183:186], v228 offset:5200
	s_waitcnt vmcnt(7) lgkmcnt(1)
	v_mul_f64 v[223:224], v[217:218], v[189:190]
	v_mul_f64 v[189:190], v[215:216], v[189:190]
	v_fma_f64 v[215:216], v[215:216], v[187:188], -v[223:224]
	v_fma_f64 v[217:218], v[217:218], v[187:188], v[189:190]
	global_load_dwordx4 v[187:190], v[229:230], off offset:1488
	s_waitcnt vmcnt(7) lgkmcnt(0)
	v_mul_f64 v[223:224], v[185:186], v[193:194]
	v_mul_f64 v[193:194], v[183:184], v[193:194]
	ds_read_b128 v[229:232], v228 offset:12480
	v_fma_f64 v[183:184], v[183:184], v[191:192], -v[223:224]
	v_fma_f64 v[185:186], v[185:186], v[191:192], v[193:194]
	ds_read_b128 v[191:194], v228 offset:6240
	s_waitcnt vmcnt(6) lgkmcnt(0)
	v_mul_f64 v[223:224], v[193:194], v[197:198]
	v_mul_f64 v[197:198], v[191:192], v[197:198]
	v_fma_f64 v[191:192], v[191:192], v[195:196], -v[223:224]
	v_fma_f64 v[193:194], v[193:194], v[195:196], v[197:198]
	ds_read_b128 v[195:198], v228 offset:7280
	s_waitcnt vmcnt(5) lgkmcnt(0)
	v_mul_f64 v[223:224], v[197:198], v[201:202]
	v_mul_f64 v[201:202], v[195:196], v[201:202]
	;; [unrolled: 6-line block ×6, first 2 shown]
	v_fma_f64 v[221:222], v[223:224], v[219:220], -v[207:208]
	s_waitcnt vmcnt(0)
	v_mul_f64 v[207:208], v[231:232], v[189:190]
	v_mul_f64 v[189:190], v[229:230], v[189:190]
	v_fma_f64 v[223:224], v[225:226], v[219:220], v[213:214]
	v_add_co_u32 v213, s1, 0x7800, v181
	v_add_co_ci_u32_e64 v214, s1, 0, v182, s1
	v_add_co_u32 v181, s1, 0x8000, v181
	v_add_co_ci_u32_e64 v182, s1, 0, v182, s1
	v_fma_f64 v[229:230], v[229:230], v[187:188], -v[207:208]
	v_fma_f64 v[231:232], v[231:232], v[187:188], v[189:190]
	global_load_dwordx4 v[187:190], v[213:214], off offset:480
	s_waitcnt vmcnt(0)
	v_mul_f64 v[207:208], v[236:237], v[189:190]
	v_mul_f64 v[189:190], v[234:235], v[189:190]
	v_fma_f64 v[234:235], v[234:235], v[187:188], -v[207:208]
	v_fma_f64 v[236:237], v[236:237], v[187:188], v[189:190]
	global_load_dwordx4 v[187:190], v[213:214], off offset:1520
	s_waitcnt vmcnt(0)
	v_mul_f64 v[207:208], v[240:241], v[189:190]
	v_mul_f64 v[189:190], v[238:239], v[189:190]
	;; [unrolled: 6-line block ×4, first 2 shown]
	v_fma_f64 v[246:247], v[246:247], v[187:188], -v[181:182]
	v_fma_f64 v[248:249], v[248:249], v[187:188], v[189:190]
	ds_write_b128 v228, v[104:107]
	ds_write_b128 v228, v[108:111] offset:1040
	ds_write_b128 v228, v[172:175] offset:2080
	;; [unrolled: 1-line block ×16, first 2 shown]
.LBB0_13:
	s_or_b32 exec_lo, exec_lo, s2
	s_waitcnt lgkmcnt(0)
	s_barrier
	buffer_gl0_inv
	s_and_saveexec_b32 s1, vcc_lo
	s_cbranch_execz .LBB0_15
; %bb.14:
	ds_read_b128 v[112:115], v228
	ds_read_b128 v[120:123], v228 offset:1040
	ds_read_b128 v[152:155], v228 offset:2080
	;; [unrolled: 1-line block ×16, first 2 shown]
.LBB0_15:
	s_or_b32 exec_lo, exec_lo, s1
	s_waitcnt lgkmcnt(6)
	v_add_f64 v[203:204], v[142:143], v[162:163]
	s_mov_b32 s34, 0x3259b75e
	s_mov_b32 s35, 0x3fb79ee6
	v_add_f64 v[201:202], v[138:139], v[126:127]
	s_mov_b32 s30, 0x910ea3b9
	s_mov_b32 s31, 0xbfeb34fa
	s_waitcnt lgkmcnt(0)
	v_add_f64 v[253:254], v[122:123], -v[2:3]
	v_add_f64 v[241:242], v[122:123], v[2:3]
	s_mov_b32 s20, 0x7c9e640b
	s_mov_b32 s2, 0x2b2883cd
	;; [unrolled: 1-line block ×4, first 2 shown]
	v_add_f64 v[247:248], v[120:121], v[0:1]
	v_add_f64 v[185:186], v[154:155], -v[6:7]
	v_add_f64 v[243:244], v[120:121], -v[0:1]
	v_add_f64 v[174:175], v[154:155], v[6:7]
	s_mov_b32 s10, 0x6c9a05f6
	s_mov_b32 s8, 0x6ed5f1bb
	;; [unrolled: 1-line block ×4, first 2 shown]
	v_add_f64 v[172:173], v[152:153], v[4:5]
	v_add_f64 v[189:190], v[150:151], -v[134:135]
	v_mul_f64 v[8:9], v[203:204], s[34:35]
	v_add_f64 v[191:192], v[152:153], -v[4:5]
	v_add_f64 v[178:179], v[150:151], v[134:135]
	v_mul_f64 v[10:11], v[201:202], s[30:31]
	s_mov_b32 s16, 0xacd6c6b4
	s_mov_b32 s18, 0x7faef3
	v_mul_f64 v[245:246], v[253:254], s[20:21]
	v_mul_f64 v[249:250], v[241:242], s[2:3]
	s_mov_b32 s17, 0xbfc7851a
	s_mov_b32 s43, 0x3fc7851a
	;; [unrolled: 1-line block ×4, first 2 shown]
	v_add_f64 v[176:177], v[148:149], v[132:133]
	v_mul_f64 v[12:13], v[185:186], s[10:11]
	v_add_f64 v[207:208], v[118:119], -v[166:167]
	v_mul_f64 v[16:17], v[174:175], s[8:9]
	v_add_f64 v[213:214], v[148:149], -v[132:133]
	v_add_f64 v[183:184], v[118:119], v[166:167]
	s_mov_b32 s36, 0x923c349f
	s_mov_b32 s22, 0xc61f0d01
	;; [unrolled: 1-line block ×3, first 2 shown]
	v_mul_f64 v[14:15], v[189:190], s[42:43]
	buffer_store_dword v8, off, s[60:63], 0 offset:148 ; 4-byte Folded Spill
	buffer_store_dword v9, off, s[60:63], 0 offset:152 ; 4-byte Folded Spill
	;; [unrolled: 1-line block ×4, first 2 shown]
	v_mul_f64 v[22:23], v[178:179], s[18:19]
	s_mov_b32 s23, 0xbfd183b1
	v_fma_f64 v[104:105], v[247:248], s[2:3], -v[245:246]
	v_fma_f64 v[106:107], v[243:244], s[20:21], v[249:250]
	v_add_f64 v[181:182], v[116:117], v[164:165]
	v_add_f64 v[217:218], v[116:117], -v[164:165]
	v_add_f64 v[219:220], v[158:159], -v[170:171]
	s_mov_b32 s38, 0x2a9d6da3
	s_mov_b32 s39, 0x3fe58eea
	v_fma_f64 v[108:109], v[172:173], s[8:9], -v[12:13]
	v_mul_f64 v[28:29], v[207:208], s[36:37]
	v_fma_f64 v[110:111], v[191:192], s[10:11], v[16:17]
	v_add_f64 v[195:196], v[158:159], v[170:171]
	v_mul_f64 v[30:31], v[183:184], s[22:23]
	s_mov_b32 s26, 0x75d4884
	s_mov_b32 s27, 0x3fe7a5f6
	v_add_f64 v[225:226], v[156:157], -v[168:169]
	v_fma_f64 v[187:188], v[176:177], s[18:19], -v[14:15]
	v_add_f64 v[223:224], v[130:131], -v[146:147]
	s_mov_b32 s28, 0x5d8e7cdc
	s_mov_b32 s29, 0x3fd71e95
	;; [unrolled: 1-line block ×4, first 2 shown]
	v_add_f64 v[193:194], v[128:129], v[144:145]
	v_add_f64 v[104:105], v[112:113], v[104:105]
	;; [unrolled: 1-line block ×4, first 2 shown]
	s_mov_b32 s24, 0x370991
	v_mul_f64 v[32:33], v[219:220], s[38:39]
	s_mov_b32 s25, 0x3fedd6d0
	v_add_f64 v[229:230], v[128:129], -v[144:145]
	v_add_f64 v[211:212], v[142:143], -v[162:163]
	s_mov_b32 s46, 0xeb564b22
	s_mov_b32 s47, 0xbfefdd0d
	v_mul_f64 v[18:19], v[195:196], s[26:27]
	v_add_f64 v[199:200], v[140:141], v[160:161]
	v_add_f64 v[231:232], v[140:141], -v[160:161]
	v_add_f64 v[209:210], v[138:139], -v[126:127]
	s_mov_b32 s44, 0x4363dd80
	s_mov_b32 s45, 0xbfe0d888
	v_mul_f64 v[34:35], v[223:224], s[40:41]
	v_add_f64 v[197:198], v[136:137], v[124:125]
	v_add_f64 v[215:216], v[136:137], -v[124:125]
	v_mul_f64 v[251:252], v[253:254], s[46:47]
	v_mul_f64 v[221:222], v[241:242], s[34:35]
	s_mov_b32 s49, 0x3fe9895b
	v_add_f64 v[104:105], v[108:109], v[104:105]
	v_add_f64 v[106:107], v[110:111], v[106:107]
	v_fma_f64 v[108:109], v[213:214], s[42:43], v[22:23]
	v_fma_f64 v[110:111], v[181:182], s[22:23], -v[28:29]
	v_mul_f64 v[24:25], v[205:206], s[24:25]
	s_mov_b32 s48, s10
	v_mul_f64 v[20:21], v[211:212], s[46:47]
	v_mul_f64 v[26:27], v[209:210], s[44:45]
	v_add_f64 v[104:105], v[187:188], v[104:105]
	v_add_f64 v[187:188], v[156:157], v[168:169]
	;; [unrolled: 1-line block ×3, first 2 shown]
	v_fma_f64 v[108:109], v[217:218], s[36:37], v[30:31]
	v_add_f64 v[104:105], v[110:111], v[104:105]
	v_add_f64 v[106:107], v[108:109], v[106:107]
	v_fma_f64 v[108:109], v[187:188], s[26:27], -v[32:33]
	v_add_f64 v[104:105], v[108:109], v[104:105]
	v_fma_f64 v[108:109], v[225:226], s[38:39], v[18:19]
	v_add_f64 v[106:107], v[108:109], v[106:107]
	v_fma_f64 v[108:109], v[193:194], s[24:25], -v[34:35]
	v_add_f64 v[104:105], v[108:109], v[104:105]
	v_fma_f64 v[108:109], v[229:230], s[40:41], v[24:25]
	;; [unrolled: 4-line block ×4, first 2 shown]
	v_mul_f64 v[104:105], v[178:179], s[22:23]
	v_add_f64 v[10:11], v[108:109], v[106:107]
	v_mul_f64 v[106:107], v[183:184], s[24:25]
	v_fma_f64 v[108:109], v[247:248], s[34:35], -v[251:252]
	buffer_store_dword v8, off, s[60:63], 0 offset:12 ; 4-byte Folded Spill
	buffer_store_dword v9, off, s[60:63], 0 offset:16 ; 4-byte Folded Spill
	;; [unrolled: 1-line block ×4, first 2 shown]
	v_mul_f64 v[10:11], v[174:175], s[18:19]
	v_mul_f64 v[8:9], v[185:186], s[16:17]
	v_add_f64 v[108:109], v[112:113], v[108:109]
	buffer_store_dword v10, off, s[60:63], 0 offset:196 ; 4-byte Folded Spill
	buffer_store_dword v11, off, s[60:63], 0 offset:200 ; 4-byte Folded Spill
	;; [unrolled: 1-line block ×6, first 2 shown]
	v_fma_f64 v[110:111], v[172:173], s[18:19], -v[8:9]
	v_add_f64 v[108:109], v[110:111], v[108:109]
	v_fma_f64 v[110:111], v[243:244], s[46:47], v[221:222]
	v_add_f64 v[110:111], v[114:115], v[110:111]
	v_fma_f64 v[234:235], v[191:192], s[16:17], v[10:11]
	v_mul_f64 v[10:11], v[189:190], s[36:37]
	v_add_f64 v[110:111], v[234:235], v[110:111]
	v_fma_f64 v[234:235], v[176:177], s[22:23], -v[10:11]
	v_add_f64 v[108:109], v[234:235], v[108:109]
	v_fma_f64 v[234:235], v[213:214], s[36:37], v[104:105]
	v_mul_f64 v[104:105], v[207:208], s[28:29]
	v_add_f64 v[110:111], v[234:235], v[110:111]
	v_fma_f64 v[234:235], v[181:182], s[24:25], -v[104:105]
	;; [unrolled: 5-line block ×3, first 2 shown]
	v_add_f64 v[108:109], v[234:235], v[108:109]
	v_mul_f64 v[234:235], v[195:196], s[2:3]
	buffer_store_dword v234, off, s[60:63], 0 offset:220 ; 4-byte Folded Spill
	buffer_store_dword v235, off, s[60:63], 0 offset:224 ; 4-byte Folded Spill
	v_fma_f64 v[234:235], v[225:226], s[20:21], v[234:235]
	v_add_f64 v[110:111], v[234:235], v[110:111]
	v_mul_f64 v[234:235], v[223:224], s[44:45]
	buffer_store_dword v234, off, s[60:63], 0 offset:156 ; 4-byte Folded Spill
	buffer_store_dword v235, off, s[60:63], 0 offset:160 ; 4-byte Folded Spill
	v_fma_f64 v[234:235], v[193:194], s[30:31], -v[234:235]
	v_add_f64 v[108:109], v[234:235], v[108:109]
	v_mul_f64 v[234:235], v[205:206], s[30:31]
	buffer_store_dword v234, off, s[60:63], 0 offset:228 ; 4-byte Folded Spill
	buffer_store_dword v235, off, s[60:63], 0 offset:232 ; 4-byte Folded Spill
	v_fma_f64 v[237:238], v[229:230], s[44:45], v[234:235]
	v_mul_f64 v[234:235], v[211:212], s[48:49]
	buffer_store_dword v234, off, s[60:63], 0 offset:164 ; 4-byte Folded Spill
	buffer_store_dword v235, off, s[60:63], 0 offset:168 ; 4-byte Folded Spill
	v_add_f64 v[110:111], v[237:238], v[110:111]
	v_fma_f64 v[237:238], v[199:200], s[8:9], -v[234:235]
	v_mul_f64 v[234:235], v[203:204], s[8:9]
	buffer_store_dword v234, off, s[60:63], 0 offset:236 ; 4-byte Folded Spill
	buffer_store_dword v235, off, s[60:63], 0 offset:240 ; 4-byte Folded Spill
	v_add_f64 v[108:109], v[237:238], v[108:109]
	v_fma_f64 v[239:240], v[231:232], s[48:49], v[234:235]
	v_mul_f64 v[234:235], v[209:210], s[38:39]
	buffer_store_dword v234, off, s[60:63], 0 offset:180 ; 4-byte Folded Spill
	buffer_store_dword v235, off, s[60:63], 0 offset:184 ; 4-byte Folded Spill
	v_add_f64 v[110:111], v[239:240], v[110:111]
	s_waitcnt_vscnt null, 0x0
	s_barrier
	buffer_gl0_inv
	v_fma_f64 v[239:240], v[197:198], s[26:27], -v[234:235]
	v_add_f64 v[236:237], v[239:240], v[108:109]
	v_mul_f64 v[108:109], v[201:202], s[26:27]
	v_fma_f64 v[234:235], v[215:216], s[38:39], v[108:109]
	v_add_f64 v[238:239], v[234:235], v[110:111]
	s_and_saveexec_b32 s1, vcc_lo
	s_cbranch_execz .LBB0_17
; %bb.16:
	v_add_f64 v[120:121], v[112:113], v[120:121]
	v_add_f64 v[122:123], v[114:115], v[122:123]
	s_mov_b32 s57, 0xbfeec746
	s_mov_b32 s56, s36
	;; [unrolled: 1-line block ×8, first 2 shown]
	v_add_f64 v[120:121], v[120:121], v[152:153]
	v_add_f64 v[122:123], v[122:123], v[154:155]
	v_mul_f64 v[152:153], v[253:254], s[56:57]
	v_mul_f64 v[154:155], v[253:254], s[52:53]
	v_add_f64 v[120:121], v[120:121], v[148:149]
	v_add_f64 v[122:123], v[122:123], v[150:151]
	v_mul_f64 v[148:149], v[253:254], s[10:11]
	v_mul_f64 v[150:151], v[253:254], s[40:41]
	;; [unrolled: 4-line block ×3, first 2 shown]
	v_add_f64 v[116:117], v[116:117], v[156:157]
	v_add_f64 v[118:119], v[118:119], v[158:159]
	;; [unrolled: 1-line block ×4, first 2 shown]
	v_mul_f64 v[128:129], v[243:244], s[56:57]
	v_mul_f64 v[130:131], v[243:244], s[52:53]
	v_add_f64 v[116:117], v[116:117], v[140:141]
	v_add_f64 v[118:119], v[118:119], v[142:143]
	v_fma_f64 v[140:141], v[241:242], s[22:23], v[128:129]
	v_fma_f64 v[142:143], v[241:242], s[26:27], -v[130:131]
	v_fma_f64 v[130:131], v[241:242], s[26:27], v[130:131]
	v_fma_f64 v[128:129], v[241:242], s[22:23], -v[128:129]
	v_add_f64 v[116:117], v[116:117], v[136:137]
	v_add_f64 v[118:119], v[118:119], v[138:139]
	;; [unrolled: 1-line block ×4, first 2 shown]
	v_mul_f64 v[124:125], v[243:244], s[10:11]
	v_add_f64 v[118:119], v[118:119], v[126:127]
	v_mul_f64 v[126:127], v[243:244], s[40:41]
	v_add_f64 v[116:117], v[116:117], v[160:161]
	v_fma_f64 v[136:137], v[241:242], s[8:9], v[124:125]
	v_fma_f64 v[160:161], v[247:248], s[8:9], -v[148:149]
	v_add_f64 v[118:119], v[118:119], v[162:163]
	v_fma_f64 v[124:125], v[241:242], s[8:9], -v[124:125]
	v_fma_f64 v[138:139], v[241:242], s[24:25], -v[126:127]
	v_fma_f64 v[126:127], v[241:242], s[24:25], v[126:127]
	v_fma_f64 v[148:149], v[247:248], s[8:9], v[148:149]
	;; [unrolled: 1-line block ×3, first 2 shown]
	v_fma_f64 v[150:151], v[247:248], s[24:25], -v[150:151]
	v_add_f64 v[116:117], v[116:117], v[144:145]
	v_add_f64 v[110:111], v[114:115], v[136:137]
	v_mul_f64 v[144:145], v[253:254], s[16:17]
	v_add_f64 v[118:119], v[118:119], v[146:147]
	v_mul_f64 v[146:147], v[253:254], s[44:45]
	v_add_f64 v[138:139], v[114:115], v[138:139]
	v_mov_b32_e32 v137, v105
	v_mov_b32_e32 v136, v104
	v_add_f64 v[162:163], v[112:113], v[162:163]
	v_mov_b32_e32 v105, v19
	v_mov_b32_e32 v104, v18
	v_mul_f64 v[18:19], v[229:230], s[10:11]
	buffer_store_dword v110, off, s[60:63], 0 offset:316 ; 4-byte Folded Spill
	buffer_store_dword v111, off, s[60:63], 0 offset:320 ; 4-byte Folded Spill
	v_add_f64 v[116:117], v[116:117], v[168:169]
	v_add_f64 v[110:111], v[112:113], v[160:161]
	;; [unrolled: 1-line block ×3, first 2 shown]
	v_fma_f64 v[156:157], v[247:248], s[18:19], -v[144:145]
	v_fma_f64 v[144:145], v[247:248], s[18:19], v[144:145]
	v_fma_f64 v[158:159], v[247:248], s[30:31], -v[146:147]
	v_fma_f64 v[146:147], v[247:248], s[30:31], v[146:147]
	v_mov_b32_e32 v161, v109
	v_mov_b32_e32 v160, v108
	;; [unrolled: 1-line block ×4, first 2 shown]
	buffer_store_dword v110, off, s[60:63], 0 offset:308 ; 4-byte Folded Spill
	buffer_store_dword v111, off, s[60:63], 0 offset:312 ; 4-byte Folded Spill
	v_add_f64 v[116:117], v[116:117], v[164:165]
	v_add_f64 v[110:111], v[114:115], v[124:125]
	;; [unrolled: 1-line block ×3, first 2 shown]
	v_fma_f64 v[164:165], v[247:248], s[22:23], -v[152:153]
	v_fma_f64 v[166:167], v[247:248], s[26:27], v[154:155]
	v_fma_f64 v[154:155], v[247:248], s[26:27], -v[154:155]
	v_fma_f64 v[152:153], v[247:248], s[22:23], v[152:153]
	v_add_f64 v[156:157], v[112:113], v[156:157]
	v_add_f64 v[144:145], v[112:113], v[144:145]
	;; [unrolled: 1-line block ×4, first 2 shown]
	buffer_store_dword v110, off, s[60:63], 0 offset:332 ; 4-byte Folded Spill
	buffer_store_dword v111, off, s[60:63], 0 offset:336 ; 4-byte Folded Spill
	v_add_f64 v[116:117], v[116:117], v[132:133]
	v_add_f64 v[110:111], v[112:113], v[148:149]
	;; [unrolled: 1-line block ×3, first 2 shown]
	v_fma_f64 v[132:133], v[241:242], s[18:19], v[120:121]
	v_fma_f64 v[120:121], v[241:242], s[18:19], -v[120:121]
	v_fma_f64 v[134:135], v[241:242], s[30:31], v[122:123]
	v_fma_f64 v[122:123], v[241:242], s[30:31], -v[122:123]
	v_mov_b32_e32 v149, v107
	v_mov_b32_e32 v148, v106
	;; [unrolled: 1-line block ×4, first 2 shown]
	buffer_store_dword v110, off, s[60:63], 0 offset:324 ; 4-byte Folded Spill
	buffer_store_dword v111, off, s[60:63], 0 offset:328 ; 4-byte Folded Spill
	v_add_f64 v[4:5], v[116:117], v[4:5]
	v_add_f64 v[6:7], v[118:119], v[6:7]
	v_mul_f64 v[118:119], v[247:248], s[2:3]
	v_mul_f64 v[116:117], v[243:244], s[20:21]
	v_add_f64 v[168:169], v[114:115], v[132:133]
	v_add_f64 v[120:121], v[114:115], v[120:121]
	;; [unrolled: 1-line block ×4, first 2 shown]
	v_mov_b32_e32 v133, v9
	v_mov_b32_e32 v135, v11
	;; [unrolled: 1-line block ×6, first 2 shown]
	v_add_f64 v[0:1], v[4:5], v[0:1]
	v_mul_f64 v[4:5], v[243:244], s[46:47]
	v_add_f64 v[2:3], v[6:7], v[2:3]
	v_mul_f64 v[6:7], v[247:248], s[34:35]
	v_add_f64 v[118:119], v[118:119], v[245:246]
	v_add_f64 v[116:117], v[249:250], -v[116:117]
	v_add_f64 v[4:5], v[221:222], -v[4:5]
	v_add_f64 v[6:7], v[6:7], v[251:252]
	v_add_f64 v[245:246], v[112:113], v[118:119]
	;; [unrolled: 1-line block ×3, first 2 shown]
	v_mul_f64 v[116:117], v[213:214], s[44:45]
	v_add_f64 v[234:235], v[114:115], v[4:5]
	v_add_f64 v[4:5], v[114:115], v[126:127]
	;; [unrolled: 1-line block ×3, first 2 shown]
	buffer_store_dword v4, off, s[60:63], 0 offset:268 ; 4-byte Folded Spill
	buffer_store_dword v5, off, s[60:63], 0 offset:272 ; 4-byte Folded Spill
	v_add_f64 v[4:5], v[112:113], v[150:151]
	v_add_f64 v[150:151], v[112:113], v[152:153]
	;; [unrolled: 1-line block ×3, first 2 shown]
	v_fma_f64 v[118:119], v[178:179], s[30:31], v[116:117]
	v_fma_f64 v[116:117], v[178:179], s[30:31], -v[116:117]
	buffer_store_dword v4, off, s[60:63], 0 offset:260 ; 4-byte Folded Spill
	buffer_store_dword v5, off, s[60:63], 0 offset:264 ; 4-byte Folded Spill
	v_add_f64 v[4:5], v[114:115], v[140:141]
	v_add_f64 v[140:141], v[114:115], v[128:129]
	buffer_store_dword v4, off, s[60:63], 0 offset:300 ; 4-byte Folded Spill
	buffer_store_dword v5, off, s[60:63], 0 offset:304 ; 4-byte Folded Spill
	v_add_f64 v[4:5], v[112:113], v[164:165]
	buffer_store_dword v4, off, s[60:63], 0 offset:292 ; 4-byte Folded Spill
	buffer_store_dword v5, off, s[60:63], 0 offset:296 ; 4-byte Folded Spill
	v_add_f64 v[4:5], v[114:115], v[130:131]
	v_mul_f64 v[114:115], v[185:186], s[28:29]
	v_mul_f64 v[130:131], v[217:218], s[36:37]
	buffer_store_dword v4, off, s[60:63], 0 offset:284 ; 4-byte Folded Spill
	buffer_store_dword v5, off, s[60:63], 0 offset:288 ; 4-byte Folded Spill
	v_add_f64 v[4:5], v[112:113], v[154:155]
	v_mul_f64 v[112:113], v[191:192], s[28:29]
	v_fma_f64 v[6:7], v[172:173], s[24:25], -v[114:115]
	v_fma_f64 v[114:115], v[172:173], s[24:25], v[114:115]
	v_add_f64 v[130:131], v[30:31], -v[130:131]
	v_mul_f64 v[30:31], v[211:212], s[40:41]
	buffer_store_dword v4, off, s[60:63], 0 offset:276 ; 4-byte Folded Spill
	buffer_store_dword v5, off, s[60:63], 0 offset:280 ; 4-byte Folded Spill
	v_fma_f64 v[4:5], v[174:175], s[24:25], v[112:113]
	v_add_f64 v[6:7], v[6:7], v[156:157]
	v_fma_f64 v[112:113], v[174:175], s[24:25], -v[112:113]
	v_add_f64 v[114:115], v[114:115], v[144:145]
	buffer_store_dword v236, off, s[60:63], 0 offset:244 ; 4-byte Folded Spill
	buffer_store_dword v237, off, s[60:63], 0 offset:248 ; 4-byte Folded Spill
	;; [unrolled: 1-line block ×4, first 2 shown]
	v_mul_f64 v[236:237], v[215:216], s[54:55]
	v_mul_f64 v[238:239], v[209:210], s[54:55]
	;; [unrolled: 1-line block ×3, first 2 shown]
	v_add_f64 v[4:5], v[4:5], v[168:169]
	v_add_f64 v[112:113], v[112:113], v[120:121]
	v_mul_f64 v[120:121], v[191:192], s[50:51]
	v_add_f64 v[4:5], v[118:119], v[4:5]
	v_mul_f64 v[118:119], v[189:190], s[44:45]
	v_add_f64 v[112:113], v[116:117], v[112:113]
	v_fma_f64 v[154:155], v[176:177], s[30:31], -v[118:119]
	v_fma_f64 v[116:117], v[176:177], s[30:31], v[118:119]
	v_fma_f64 v[118:119], v[197:198], s[34:35], v[238:239]
	v_add_f64 v[6:7], v[154:155], v[6:7]
	v_mul_f64 v[154:155], v[217:218], s[38:39]
	v_add_f64 v[114:115], v[116:117], v[114:115]
	v_fma_f64 v[156:157], v[183:184], s[26:27], v[154:155]
	v_fma_f64 v[116:117], v[183:184], s[26:27], -v[154:155]
	v_mul_f64 v[154:155], v[213:214], s[46:47]
	v_add_f64 v[4:5], v[156:157], v[4:5]
	v_mul_f64 v[156:157], v[207:208], s[38:39]
	v_add_f64 v[112:113], v[116:117], v[112:113]
	v_fma_f64 v[164:165], v[181:182], s[26:27], -v[156:157]
	v_fma_f64 v[116:117], v[181:182], s[26:27], v[156:157]
	v_fma_f64 v[156:157], v[178:179], s[34:35], v[154:155]
	v_add_f64 v[6:7], v[164:165], v[6:7]
	v_mul_f64 v[164:165], v[225:226], s[10:11]
	v_add_f64 v[114:115], v[116:117], v[114:115]
	v_fma_f64 v[166:167], v[195:196], s[8:9], v[164:165]
	v_fma_f64 v[116:117], v[195:196], s[8:9], -v[164:165]
	v_add_f64 v[4:5], v[166:167], v[4:5]
	v_mul_f64 v[166:167], v[219:220], s[10:11]
	v_add_f64 v[112:113], v[116:117], v[112:113]
	v_fma_f64 v[168:169], v[187:188], s[8:9], -v[166:167]
	v_fma_f64 v[116:117], v[187:188], s[8:9], v[166:167]
	v_add_f64 v[6:7], v[168:169], v[6:7]
	v_mul_f64 v[168:169], v[229:230], s[50:51]
	v_add_f64 v[114:115], v[116:117], v[114:115]
	v_fma_f64 v[247:248], v[205:206], s[2:3], v[168:169]
	v_fma_f64 v[116:117], v[205:206], s[2:3], -v[168:169]
	v_add_f64 v[4:5], v[247:248], v[4:5]
	v_mul_f64 v[247:248], v[223:224], s[50:51]
	v_add_f64 v[112:113], v[116:117], v[112:113]
	v_fma_f64 v[249:250], v[193:194], s[2:3], -v[247:248]
	v_fma_f64 v[116:117], v[193:194], s[2:3], v[247:248]
	v_add_f64 v[6:7], v[249:250], v[6:7]
	v_mul_f64 v[249:250], v[231:232], s[56:57]
	v_add_f64 v[114:115], v[116:117], v[114:115]
	v_fma_f64 v[251:252], v[203:204], s[22:23], v[249:250]
	v_fma_f64 v[116:117], v[203:204], s[22:23], -v[249:250]
	v_add_f64 v[4:5], v[251:252], v[4:5]
	v_mul_f64 v[251:252], v[211:212], s[56:57]
	v_add_f64 v[112:113], v[116:117], v[112:113]
	v_fma_f64 v[116:117], v[199:200], s[22:23], v[251:252]
	v_fma_f64 v[253:254], v[199:200], s[22:23], -v[251:252]
	v_mul_f64 v[251:252], v[215:216], s[56:57]
	v_add_f64 v[116:117], v[116:117], v[114:115]
	v_fma_f64 v[114:115], v[201:202], s[34:35], -v[236:237]
	v_add_f64 v[253:254], v[253:254], v[6:7]
	v_fma_f64 v[6:7], v[201:202], s[34:35], v[236:237]
	v_add_f64 v[114:115], v[114:115], v[112:113]
	v_add_f64 v[112:113], v[118:119], v[116:117]
	v_fma_f64 v[116:117], v[174:175], s[2:3], v[120:121]
	v_fma_f64 v[118:119], v[172:173], s[2:3], -v[144:145]
	v_fma_f64 v[120:121], v[174:175], s[2:3], -v[120:121]
	v_add_f64 v[6:7], v[6:7], v[4:5]
	v_fma_f64 v[4:5], v[197:198], s[34:35], -v[238:239]
	v_add_f64 v[116:117], v[116:117], v[170:171]
	v_add_f64 v[118:119], v[118:119], v[158:159]
	;; [unrolled: 1-line block ×3, first 2 shown]
	v_fma_f64 v[122:123], v[172:173], s[2:3], v[144:145]
	v_fma_f64 v[144:145], v[178:179], s[34:35], -v[154:155]
	v_mul_f64 v[154:155], v[191:192], s[52:53]
	v_add_f64 v[4:5], v[4:5], v[253:254]
	v_mul_f64 v[253:254], v[209:210], s[56:57]
	v_add_f64 v[116:117], v[156:157], v[116:117]
	;; [unrolled: 2-line block ×3, first 2 shown]
	v_add_f64 v[120:121], v[144:145], v[120:121]
	v_fma_f64 v[146:147], v[197:198], s[22:23], v[253:254]
	v_fma_f64 v[158:159], v[176:177], s[34:35], -v[156:157]
	v_fma_f64 v[144:145], v[176:177], s[34:35], v[156:157]
	v_fma_f64 v[156:157], v[174:175], s[26:27], -v[154:155]
	v_add_f64 v[118:119], v[158:159], v[118:119]
	v_mul_f64 v[158:159], v[217:218], s[48:49]
	v_add_f64 v[138:139], v[156:157], v[138:139]
	v_mul_f64 v[156:157], v[185:186], s[52:53]
	v_add_f64 v[122:123], v[144:145], v[122:123]
	v_fma_f64 v[164:165], v[183:184], s[8:9], v[158:159]
	v_fma_f64 v[144:145], v[183:184], s[8:9], -v[158:159]
	v_fma_f64 v[158:159], v[172:173], s[26:27], v[156:157]
	v_add_f64 v[116:117], v[164:165], v[116:117]
	v_mul_f64 v[164:165], v[207:208], s[48:49]
	v_add_f64 v[158:159], v[158:159], v[162:163]
	v_mul_f64 v[162:163], v[191:192], s[46:47]
	v_add_f64 v[120:121], v[144:145], v[120:121]
	v_fma_f64 v[166:167], v[181:182], s[8:9], -v[164:165]
	v_fma_f64 v[144:145], v[181:182], s[8:9], v[164:165]
	v_fma_f64 v[164:165], v[174:175], s[34:35], -v[162:163]
	v_add_f64 v[118:119], v[166:167], v[118:119]
	v_mul_f64 v[166:167], v[225:226], s[40:41]
	v_add_f64 v[142:143], v[164:165], v[142:143]
	v_mul_f64 v[164:165], v[185:186], s[46:47]
	v_add_f64 v[122:123], v[144:145], v[122:123]
	v_fma_f64 v[168:169], v[195:196], s[24:25], v[166:167]
	v_fma_f64 v[144:145], v[195:196], s[24:25], -v[166:167]
	v_fma_f64 v[166:167], v[172:173], s[34:35], v[164:165]
	v_add_f64 v[116:117], v[168:169], v[116:117]
	v_mul_f64 v[168:169], v[219:220], s[40:41]
	v_add_f64 v[152:153], v[166:167], v[152:153]
	v_mul_f64 v[166:167], v[213:214], s[20:21]
	v_add_f64 v[120:121], v[144:145], v[120:121]
	v_fma_f64 v[170:171], v[187:188], s[24:25], -v[168:169]
	v_fma_f64 v[144:145], v[187:188], s[24:25], v[168:169]
	v_fma_f64 v[168:169], v[178:179], s[2:3], -v[166:167]
	v_add_f64 v[118:119], v[170:171], v[118:119]
	v_mul_f64 v[170:171], v[229:230], s[16:17]
	v_add_f64 v[122:123], v[144:145], v[122:123]
	v_add_f64 v[138:139], v[168:169], v[138:139]
	v_mul_f64 v[168:169], v[189:190], s[20:21]
	v_fma_f64 v[236:237], v[205:206], s[18:19], v[170:171]
	v_fma_f64 v[144:145], v[205:206], s[18:19], -v[170:171]
	v_fma_f64 v[170:171], v[176:177], s[2:3], v[168:169]
	v_add_f64 v[116:117], v[236:237], v[116:117]
	v_mul_f64 v[236:237], v[223:224], s[16:17]
	v_add_f64 v[120:121], v[144:145], v[120:121]
	v_add_f64 v[158:159], v[170:171], v[158:159]
	v_mul_f64 v[170:171], v[213:214], s[10:11]
	v_fma_f64 v[238:239], v[193:194], s[18:19], -v[236:237]
	v_fma_f64 v[144:145], v[193:194], s[18:19], v[236:237]
	v_fma_f64 v[236:237], v[178:179], s[8:9], -v[170:171]
	v_add_f64 v[118:119], v[238:239], v[118:119]
	v_mul_f64 v[238:239], v[231:232], s[38:39]
	v_add_f64 v[122:123], v[144:145], v[122:123]
	v_add_f64 v[142:143], v[236:237], v[142:143]
	v_mul_f64 v[236:237], v[189:190], s[10:11]
	v_fma_f64 v[247:248], v[203:204], s[26:27], v[238:239]
	v_fma_f64 v[144:145], v[203:204], s[26:27], -v[238:239]
	v_fma_f64 v[238:239], v[176:177], s[8:9], v[236:237]
	v_add_f64 v[116:117], v[247:248], v[116:117]
	v_mul_f64 v[247:248], v[211:212], s[38:39]
	v_add_f64 v[120:121], v[144:145], v[120:121]
	v_add_f64 v[152:153], v[238:239], v[152:153]
	v_mul_f64 v[238:239], v[217:218], s[46:47]
	v_fma_f64 v[144:145], v[199:200], s[26:27], v[247:248]
	v_fma_f64 v[249:250], v[199:200], s[26:27], -v[247:248]
	v_add_f64 v[144:145], v[144:145], v[122:123]
	v_fma_f64 v[122:123], v[201:202], s[22:23], -v[251:252]
	v_add_f64 v[249:250], v[249:250], v[118:119]
	v_fma_f64 v[118:119], v[201:202], s[22:23], v[251:252]
	v_add_f64 v[122:123], v[122:123], v[120:121]
	v_add_f64 v[120:121], v[146:147], v[144:145]
	v_mul_f64 v[144:145], v[191:192], s[10:11]
	v_add_f64 v[118:119], v[118:119], v[116:117]
	v_fma_f64 v[116:117], v[197:198], s[22:23], -v[253:254]
	v_mul_f64 v[146:147], v[213:214], s[42:43]
	s_mov_b32 s43, 0x3fe0d888
	s_mov_b32 s42, s44
	v_mul_f64 v[10:11], v[225:226], s[42:43]
	v_add_f64 v[144:145], v[16:17], -v[144:145]
	v_add_f64 v[116:117], v[116:117], v[249:250]
	v_add_f64 v[146:147], v[22:23], -v[146:147]
	v_add_f64 v[144:145], v[144:145], v[243:244]
	v_fma_f64 v[243:244], v[183:184], s[34:35], -v[238:239]
	v_add_f64 v[144:145], v[146:147], v[144:145]
	v_add_f64 v[138:139], v[243:244], v[138:139]
	v_mul_f64 v[243:244], v[207:208], s[46:47]
	v_mul_f64 v[146:147], v[176:177], s[18:19]
	v_add_f64 v[130:131], v[130:131], v[144:145]
	v_mul_f64 v[144:145], v[181:182], s[22:23]
	v_fma_f64 v[247:248], v[181:182], s[34:35], v[243:244]
	v_add_f64 v[146:147], v[146:147], v[14:15]
	v_mul_f64 v[14:15], v[207:208], s[20:21]
	v_add_f64 v[144:145], v[144:145], v[28:29]
	v_add_f64 v[158:159], v[247:248], v[158:159]
	v_mul_f64 v[247:248], v[217:218], s[16:17]
	v_fma_f64 v[249:250], v[183:184], s[18:19], -v[247:248]
	v_add_f64 v[142:143], v[249:250], v[142:143]
	v_mul_f64 v[249:250], v[207:208], s[16:17]
	v_mul_f64 v[207:208], v[207:208], s[44:45]
	v_fma_f64 v[251:252], v[181:182], s[18:19], v[249:250]
	v_add_f64 v[152:153], v[251:252], v[152:153]
	v_mul_f64 v[251:252], v[225:226], s[56:57]
	v_fma_f64 v[253:254], v[195:196], s[22:23], -v[251:252]
	v_add_f64 v[138:139], v[253:254], v[138:139]
	v_mul_f64 v[253:254], v[219:220], s[56:57]
	v_fma_f64 v[8:9], v[187:188], s[22:23], v[253:254]
	v_add_f64 v[8:9], v[8:9], v[158:159]
	v_fma_f64 v[158:159], v[195:196], s[30:31], -v[10:11]
	v_fma_f64 v[10:11], v[195:196], s[30:31], v[10:11]
	v_add_f64 v[142:143], v[158:159], v[142:143]
	v_mul_f64 v[158:159], v[219:220], s[42:43]
	v_fma_f64 v[16:17], v[187:188], s[30:31], v[158:159]
	v_add_f64 v[16:17], v[16:17], v[152:153]
	v_fma_f64 v[152:153], v[205:206], s[8:9], -v[18:19]
	v_fma_f64 v[18:19], v[205:206], s[8:9], v[18:19]
	v_add_f64 v[138:139], v[152:153], v[138:139]
	v_mul_f64 v[152:153], v[223:224], s[10:11]
	v_fma_f64 v[20:21], v[193:194], s[8:9], v[152:153]
	v_fma_f64 v[152:153], v[193:194], s[8:9], -v[152:153]
	v_add_f64 v[8:9], v[20:21], v[8:9]
	v_mul_f64 v[20:21], v[229:230], s[36:37]
	v_fma_f64 v[22:23], v[205:206], s[22:23], -v[20:21]
	v_fma_f64 v[20:21], v[205:206], s[22:23], v[20:21]
	v_add_f64 v[22:23], v[22:23], v[142:143]
	v_mul_f64 v[142:143], v[223:224], s[36:37]
	v_fma_f64 v[24:25], v[193:194], s[22:23], v[142:143]
	v_fma_f64 v[142:143], v[193:194], s[22:23], -v[142:143]
	v_add_f64 v[16:17], v[24:25], v[16:17]
	v_mul_f64 v[24:25], v[231:232], s[44:45]
	;; [unrolled: 8-line block ×4, first 2 shown]
	v_add_f64 v[128:129], v[128:129], v[12:13]
	s_clause 0x1
	buffer_load_dword v12, off, s[60:63], 0 offset:148
	buffer_load_dword v13, off, s[60:63], 0 offset:152
	v_add_f64 v[128:129], v[128:129], v[245:246]
	v_mul_f64 v[245:246], v[225:226], s[38:39]
	v_add_f64 v[128:129], v[146:147], v[128:129]
	v_add_f64 v[245:246], v[104:105], -v[245:246]
	v_mul_f64 v[146:147], v[229:230], s[40:41]
	v_add_f64 v[128:129], v[144:145], v[128:129]
	v_mul_f64 v[144:145], v[231:232], s[46:47]
	v_add_f64 v[146:147], v[108:109], -v[146:147]
	v_add_f64 v[130:131], v[245:246], v[130:131]
	v_mul_f64 v[245:246], v[187:188], s[26:27]
	v_add_f64 v[130:131], v[146:147], v[130:131]
	v_add_f64 v[245:246], v[245:246], v[32:33]
	v_mul_f64 v[146:147], v[193:194], s[24:25]
	v_add_f64 v[128:129], v[245:246], v[128:129]
	;; [unrolled: 3-line block ×3, first 2 shown]
	v_mul_f64 v[146:147], v[215:216], s[44:45]
	v_add_f64 v[245:246], v[245:246], v[106:107]
	v_add_f64 v[106:107], v[245:246], v[128:129]
	v_mul_f64 v[128:129], v[191:192], s[16:17]
	v_mul_f64 v[245:246], v[217:218], s[28:29]
	s_waitcnt vmcnt(0)
	v_add_f64 v[144:145], v[12:13], -v[144:145]
	s_clause 0x1
	buffer_load_dword v12, off, s[60:63], 0 offset:172
	buffer_load_dword v13, off, s[60:63], 0 offset:176
	v_add_f64 v[144:145], v[144:145], v[130:131]
	v_mul_f64 v[130:131], v[197:198], s[30:31]
	v_add_f64 v[104:105], v[130:131], v[110:111]
	v_mul_f64 v[130:131], v[213:214], s[36:37]
	v_mul_f64 v[110:111], v[191:192], s[42:43]
	s_waitcnt vmcnt(0)
	v_add_f64 v[146:147], v[12:13], -v[146:147]
	s_clause 0x1
	buffer_load_dword v12, off, s[60:63], 0 offset:196
	buffer_load_dword v13, off, s[60:63], 0 offset:200
	s_waitcnt vmcnt(0)
	v_add_f64 v[128:129], v[12:13], -v[128:129]
	s_clause 0x1
	buffer_load_dword v12, off, s[60:63], 0 offset:204
	buffer_load_dword v13, off, s[60:63], 0 offset:208
	v_add_f64 v[128:129], v[128:129], v[234:235]
	v_mul_f64 v[234:235], v[172:173], s[18:19]
	v_add_f64 v[234:235], v[234:235], v[132:133]
	v_add_f64 v[234:235], v[234:235], v[241:242]
	v_mul_f64 v[240:241], v[225:226], s[20:21]
	s_waitcnt vmcnt(0)
	v_add_f64 v[130:131], v[12:13], -v[130:131]
	s_clause 0x1
	buffer_load_dword v12, off, s[60:63], 0 offset:212
	buffer_load_dword v13, off, s[60:63], 0 offset:216
	v_add_f64 v[128:129], v[130:131], v[128:129]
	v_mul_f64 v[130:131], v[176:177], s[22:23]
	v_add_f64 v[130:131], v[130:131], v[134:135]
	v_add_f64 v[130:131], v[130:131], v[234:235]
	v_mul_f64 v[234:235], v[229:230], s[44:45]
	;; [unrolled: 10-line block ×4, first 2 shown]
	v_add_f64 v[240:241], v[160:161], -v[240:241]
	s_waitcnt vmcnt(0)
	v_add_f64 v[234:235], v[12:13], -v[234:235]
	s_clause 0x1
	buffer_load_dword v12, off, s[60:63], 0 offset:236
	buffer_load_dword v13, off, s[60:63], 0 offset:240
	v_add_f64 v[128:129], v[234:235], v[128:129]
	v_mul_f64 v[234:235], v[193:194], s[30:31]
	s_waitcnt vmcnt(0)
	v_add_f64 v[245:246], v[12:13], -v[245:246]
	s_clause 0x1
	buffer_load_dword v12, off, s[60:63], 0 offset:156
	buffer_load_dword v13, off, s[60:63], 0 offset:160
	v_add_f64 v[245:246], v[245:246], v[128:129]
	v_mul_f64 v[128:129], v[199:200], s[8:9]
	s_waitcnt vmcnt(0)
	v_add_f64 v[234:235], v[234:235], v[12:13]
	s_clause 0x1
	buffer_load_dword v12, off, s[60:63], 0 offset:164
	buffer_load_dword v13, off, s[60:63], 0 offset:168
	v_add_f64 v[130:131], v[234:235], v[130:131]
	v_mul_f64 v[234:235], v[197:198], s[26:27]
	s_waitcnt vmcnt(0)
	v_add_f64 v[128:129], v[128:129], v[12:13]
	s_clause 0x5
	buffer_load_dword v12, off, s[60:63], 0 offset:180
	buffer_load_dword v13, off, s[60:63], 0 offset:184
	buffer_load_dword v32, off, s[60:63], 0 offset:332
	buffer_load_dword v33, off, s[60:63], 0 offset:336
	buffer_load_dword v34, off, s[60:63], 0 offset:324
	buffer_load_dword v35, off, s[60:63], 0 offset:328
	v_add_f64 v[108:109], v[128:129], v[130:131]
	v_fma_f64 v[128:129], v[174:175], s[30:31], -v[110:111]
	v_mul_f64 v[130:131], v[213:214], s[38:39]
	v_fma_f64 v[110:111], v[174:175], s[30:31], v[110:111]
	v_add_f64 v[128:129], v[128:129], v[140:141]
	v_fma_f64 v[140:141], v[178:179], s[26:27], -v[130:131]
	v_fma_f64 v[130:131], v[178:179], s[26:27], v[130:131]
	v_add_f64 v[128:129], v[140:141], v[128:129]
	v_mul_f64 v[140:141], v[217:218], s[20:21]
	v_fma_f64 v[132:133], v[183:184], s[2:3], -v[140:141]
	v_add_f64 v[128:129], v[132:133], v[128:129]
	v_mul_f64 v[132:133], v[185:186], s[42:43]
	v_mul_f64 v[185:186], v[185:186], s[36:37]
	v_fma_f64 v[134:135], v[172:173], s[30:31], v[132:133]
	v_add_f64 v[134:135], v[134:135], v[150:151]
	v_mul_f64 v[150:151], v[225:226], s[16:17]
	v_fma_f64 v[160:161], v[195:196], s[18:19], -v[150:151]
	v_add_f64 v[128:129], v[160:161], v[128:129]
	v_mul_f64 v[160:161], v[189:190], s[38:39]
	v_mul_f64 v[189:190], v[189:190], s[40:41]
	v_fma_f64 v[136:137], v[176:177], s[26:27], v[160:161]
	v_add_f64 v[134:135], v[136:137], v[134:135]
	v_mul_f64 v[136:137], v[229:230], s[54:55]
	s_waitcnt vmcnt(4)
	v_add_f64 v[234:235], v[234:235], v[12:13]
	v_fma_f64 v[12:13], v[205:206], s[34:35], -v[136:137]
	v_add_f64 v[12:13], v[12:13], v[128:129]
	v_fma_f64 v[128:129], v[181:182], s[2:3], v[14:15]
	v_fma_f64 v[14:15], v[181:182], s[2:3], -v[14:15]
	v_add_f64 v[128:129], v[128:129], v[134:135]
	v_mul_f64 v[134:135], v[219:220], s[16:17]
	v_mul_f64 v[219:220], v[219:220], s[54:55]
	v_fma_f64 v[148:149], v[187:188], s[18:19], v[134:135]
	v_add_f64 v[128:129], v[148:149], v[128:129]
	v_mul_f64 v[148:149], v[231:232], s[40:41]
	v_fma_f64 v[221:222], v[203:204], s[24:25], -v[148:149]
	v_fma_f64 v[148:149], v[203:204], s[24:25], v[148:149]
	v_add_f64 v[12:13], v[221:222], v[12:13]
	v_mul_f64 v[221:222], v[223:224], s[54:55]
	v_mul_f64 v[223:224], v[223:224], s[52:53]
	v_fma_f64 v[28:29], v[193:194], s[34:35], v[221:222]
	v_add_f64 v[28:29], v[28:29], v[128:129]
	v_fma_f64 v[128:129], v[199:200], s[24:25], v[30:31]
	v_fma_f64 v[30:31], v[199:200], s[24:25], -v[30:31]
	v_add_f64 v[28:29], v[128:129], v[28:29]
	v_mul_f64 v[128:129], v[191:192], s[36:37]
	v_fma_f64 v[191:192], v[174:175], s[22:23], -v[128:129]
	v_fma_f64 v[128:129], v[174:175], s[22:23], v[128:129]
	s_waitcnt vmcnt(2)
	v_add_f64 v[191:192], v[191:192], v[32:33]
	v_fma_f64 v[32:33], v[172:173], s[22:23], v[185:186]
	v_fma_f64 v[185:186], v[172:173], s[22:23], -v[185:186]
	s_waitcnt vmcnt(0)
	v_add_f64 v[32:33], v[32:33], v[34:35]
	v_mul_f64 v[34:35], v[213:214], s[40:41]
	v_fma_f64 v[213:214], v[178:179], s[24:25], -v[34:35]
	v_fma_f64 v[34:35], v[178:179], s[24:25], v[34:35]
	v_add_f64 v[191:192], v[213:214], v[191:192]
	v_fma_f64 v[213:214], v[176:177], s[24:25], v[189:190]
	v_add_f64 v[32:33], v[213:214], v[32:33]
	v_mul_f64 v[213:214], v[217:218], s[44:45]
	v_fma_f64 v[217:218], v[183:184], s[30:31], -v[213:214]
	v_add_f64 v[191:192], v[217:218], v[191:192]
	v_fma_f64 v[217:218], v[181:182], s[30:31], v[207:208]
	v_add_f64 v[32:33], v[217:218], v[32:33]
	v_mul_f64 v[217:218], v[225:226], s[54:55]
	v_fma_f64 v[225:226], v[195:196], s[34:35], -v[217:218]
	v_add_f64 v[191:192], v[225:226], v[191:192]
	v_fma_f64 v[225:226], v[187:188], s[34:35], v[219:220]
	v_add_f64 v[32:33], v[225:226], v[32:33]
	v_mul_f64 v[225:226], v[229:230], s[52:53]
	v_fma_f64 v[229:230], v[205:206], s[26:27], -v[225:226]
	v_add_f64 v[191:192], v[229:230], v[191:192]
	v_fma_f64 v[229:230], v[193:194], s[26:27], v[223:224]
	v_add_f64 v[32:33], v[229:230], v[32:33]
	v_mul_f64 v[229:230], v[231:232], s[16:17]
	v_fma_f64 v[231:232], v[203:204], s[18:19], -v[229:230]
	v_add_f64 v[191:192], v[231:232], v[191:192]
	s_clause 0x1
	buffer_load_dword v231, off, s[60:63], 0 offset:316
	buffer_load_dword v232, off, s[60:63], 0 offset:320
	s_waitcnt vmcnt(0)
	v_add_f64 v[128:129], v[128:129], v[231:232]
	s_clause 0x1
	buffer_load_dword v231, off, s[60:63], 0 offset:308
	buffer_load_dword v232, off, s[60:63], 0 offset:312
	v_add_f64 v[34:35], v[34:35], v[128:129]
	v_fma_f64 v[128:129], v[176:177], s[24:25], -v[189:190]
	s_waitcnt vmcnt(0)
	v_add_f64 v[185:186], v[185:186], v[231:232]
	v_add_f64 v[128:129], v[128:129], v[185:186]
	v_fma_f64 v[185:186], v[183:184], s[30:31], v[213:214]
	v_add_f64 v[34:35], v[185:186], v[34:35]
	v_fma_f64 v[185:186], v[195:196], s[34:35], v[217:218]
	v_add_f64 v[34:35], v[185:186], v[34:35]
	v_fma_f64 v[185:186], v[181:182], s[30:31], -v[207:208]
	v_add_f64 v[128:129], v[185:186], v[128:129]
	v_fma_f64 v[185:186], v[205:206], s[26:27], v[225:226]
	v_add_f64 v[34:35], v[185:186], v[34:35]
	v_fma_f64 v[185:186], v[187:188], s[34:35], -v[219:220]
	v_add_f64 v[128:129], v[185:186], v[128:129]
	v_fma_f64 v[185:186], v[193:194], s[26:27], -v[223:224]
	v_add_f64 v[128:129], v[185:186], v[128:129]
	s_clause 0x1
	buffer_load_dword v185, off, s[60:63], 0 offset:300
	buffer_load_dword v186, off, s[60:63], 0 offset:304
	s_waitcnt vmcnt(0)
	v_add_f64 v[110:111], v[110:111], v[185:186]
	v_add_f64 v[110:111], v[130:131], v[110:111]
	v_fma_f64 v[130:131], v[172:173], s[30:31], -v[132:133]
	s_clause 0x1
	buffer_load_dword v132, off, s[60:63], 0 offset:292
	buffer_load_dword v133, off, s[60:63], 0 offset:296
	s_waitcnt vmcnt(0)
	v_add_f64 v[130:131], v[130:131], v[132:133]
	v_fma_f64 v[132:133], v[183:184], s[2:3], v[140:141]
	v_fma_f64 v[140:141], v[181:182], s[18:19], -v[249:250]
	v_add_f64 v[110:111], v[132:133], v[110:111]
	v_fma_f64 v[132:133], v[176:177], s[26:27], -v[160:161]
	v_fma_f64 v[160:161], v[203:204], s[18:19], v[229:230]
	v_add_f64 v[130:131], v[132:133], v[130:131]
	v_fma_f64 v[132:133], v[195:196], s[18:19], v[150:151]
	v_add_f64 v[34:35], v[160:161], v[34:35]
	v_add_f64 v[14:15], v[14:15], v[130:131]
	v_add_f64 v[110:111], v[132:133], v[110:111]
	v_fma_f64 v[130:131], v[205:206], s[34:35], v[136:137]
	s_clause 0x1
	buffer_load_dword v132, off, s[60:63], 0 offset:284
	buffer_load_dword v133, off, s[60:63], 0 offset:288
	v_fma_f64 v[136:137], v[172:173], s[26:27], -v[156:157]
	v_mul_f64 v[156:157], v[209:210], s[16:17]
	v_add_f64 v[110:111], v[130:131], v[110:111]
	v_fma_f64 v[130:131], v[187:188], s[18:19], -v[134:135]
	s_clause 0x3
	buffer_load_dword v134, off, s[60:63], 0 offset:276
	buffer_load_dword v135, off, s[60:63], 0 offset:280
	;; [unrolled: 1-line block ×4, first 2 shown]
	v_add_f64 v[110:111], v[148:149], v[110:111]
	v_add_f64 v[14:15], v[130:131], v[14:15]
	v_fma_f64 v[130:131], v[174:175], s[34:35], v[162:163]
	v_mul_f64 v[162:163], v[215:216], s[50:51]
	s_waitcnt vmcnt(4)
	v_add_f64 v[130:131], v[130:131], v[132:133]
	v_fma_f64 v[132:133], v[172:173], s[34:35], -v[164:165]
	v_mul_f64 v[164:165], v[209:210], s[50:51]
	s_waitcnt vmcnt(2)
	v_add_f64 v[132:133], v[132:133], v[134:135]
	v_fma_f64 v[134:135], v[178:179], s[8:9], v[170:171]
	v_fma_f64 v[170:171], v[201:202], s[2:3], -v[162:163]
	v_fma_f64 v[148:149], v[197:198], s[2:3], v[164:165]
	v_fma_f64 v[162:163], v[201:202], s[2:3], v[162:163]
	v_fma_f64 v[164:165], v[197:198], s[2:3], -v[164:165]
	v_add_f64 v[130:131], v[134:135], v[130:131]
	v_fma_f64 v[134:135], v[176:177], s[8:9], -v[236:237]
	v_add_f64 v[132:133], v[134:135], v[132:133]
	v_fma_f64 v[134:135], v[183:184], s[18:19], v[247:248]
	v_add_f64 v[132:133], v[140:141], v[132:133]
	v_add_f64 v[130:131], v[134:135], v[130:131]
	v_fma_f64 v[134:135], v[174:175], s[26:27], v[154:155]
	s_clause 0x1
	buffer_load_dword v154, off, s[60:63], 0 offset:260
	buffer_load_dword v155, off, s[60:63], 0 offset:264
	v_fma_f64 v[140:141], v[178:179], s[2:3], v[166:167]
	v_add_f64 v[10:11], v[10:11], v[130:131]
	s_waitcnt vmcnt(2)
	v_add_f64 v[134:135], v[134:135], v[150:151]
	v_fma_f64 v[150:151], v[176:177], s[2:3], -v[168:169]
	v_fma_f64 v[130:131], v[183:184], s[34:35], v[238:239]
	s_clause 0x3
	buffer_load_dword v236, off, s[60:63], 0 offset:244
	buffer_load_dword v237, off, s[60:63], 0 offset:248
	;; [unrolled: 1-line block ×4, first 2 shown]
	v_add_f64 v[10:11], v[20:21], v[10:11]
	v_add_f64 v[134:135], v[140:141], v[134:135]
	v_fma_f64 v[140:141], v[181:182], s[34:35], -v[243:244]
	v_add_f64 v[10:11], v[124:125], v[10:11]
	v_add_f64 v[130:131], v[130:131], v[134:135]
	v_fma_f64 v[134:135], v[187:188], s[22:23], -v[253:254]
	s_waitcnt vmcnt(4)
	v_add_f64 v[136:137], v[136:137], v[154:155]
	v_mul_f64 v[154:155], v[211:212], s[16:17]
	v_add_f64 v[136:137], v[150:151], v[136:137]
	v_fma_f64 v[150:151], v[187:188], s[30:31], -v[158:159]
	v_mul_f64 v[158:159], v[209:210], s[28:29]
	v_fma_f64 v[20:21], v[199:200], s[18:19], v[154:155]
	v_fma_f64 v[154:155], v[199:200], s[18:19], -v[154:155]
	v_add_f64 v[136:137], v[140:141], v[136:137]
	v_add_f64 v[132:133], v[150:151], v[132:133]
	v_fma_f64 v[150:151], v[195:196], s[22:23], v[251:252]
	v_fma_f64 v[140:141], v[193:194], s[34:35], -v[221:222]
	v_add_f64 v[20:21], v[20:21], v[32:33]
	v_add_f64 v[154:155], v[154:155], v[128:129]
	v_fma_f64 v[178:179], v[197:198], s[24:25], -v[158:159]
	v_add_f64 v[134:135], v[134:135], v[136:137]
	v_mul_f64 v[136:137], v[215:216], s[10:11]
	v_add_f64 v[130:131], v[150:151], v[130:131]
	v_add_f64 v[14:15], v[140:141], v[14:15]
	v_mul_f64 v[140:141], v[215:216], s[16:17]
	v_mul_f64 v[150:151], v[215:216], s[28:29]
	v_add_f64 v[132:133], v[142:143], v[132:133]
	v_mul_f64 v[142:143], v[209:210], s[10:11]
	v_add_f64 v[134:135], v[152:153], v[134:135]
	v_fma_f64 v[152:153], v[197:198], s[24:25], v[158:159]
	v_add_f64 v[18:19], v[18:19], v[130:131]
	v_fma_f64 v[130:131], v[197:198], s[18:19], v[156:157]
	v_fma_f64 v[166:167], v[201:202], s[18:19], -v[140:141]
	v_fma_f64 v[168:169], v[201:202], s[24:25], -v[150:151]
	;; [unrolled: 1-line block ×3, first 2 shown]
	v_fma_f64 v[160:161], v[197:198], s[8:9], v[142:143]
	v_add_f64 v[14:15], v[30:31], v[14:15]
	v_fma_f64 v[30:31], v[201:202], s[8:9], v[136:137]
	v_fma_f64 v[172:173], v[197:198], s[8:9], -v[142:143]
	v_add_f64 v[174:175], v[126:127], v[132:133]
	v_add_f64 v[132:133], v[104:105], v[106:107]
	;; [unrolled: 1-line block ×3, first 2 shown]
	v_fma_f64 v[181:182], v[201:202], s[18:19], v[140:141]
	v_fma_f64 v[176:177], v[201:202], s[24:25], v[150:151]
	v_add_f64 v[150:151], v[162:163], v[34:35]
	v_add_f64 v[183:184], v[138:139], v[134:135]
	;; [unrolled: 1-line block ×5, first 2 shown]
	s_clause 0x1
	buffer_load_dword v8, off, s[60:63], 0
	buffer_load_dword v9, off, s[60:63], 0 offset:8
	v_add_f64 v[126:127], v[166:167], v[26:27]
	v_add_f64 v[130:131], v[168:169], v[22:23]
	;; [unrolled: 1-line block ×11, first 2 shown]
	v_fma_f64 v[24:25], v[197:198], s[18:19], -v[156:157]
	v_add_f64 v[158:159], v[176:177], v[10:11]
	v_add_f64 v[156:157], v[178:179], v[174:175]
	v_add_f64 v[162:163], v[181:182], v[18:19]
	v_add_f64 v[160:161], v[24:25], v[183:184]
	s_waitcnt vmcnt(1)
	v_mul_lo_u16 v8, v8, 17
	v_and_b32_e32 v8, 0xffff, v8
	s_waitcnt vmcnt(0)
	v_lshl_add_u32 v8, v8, 4, v9
	ds_write_b128 v8, v[0:3]
	ds_write_b128 v8, v[124:127] offset:16
	ds_write_b128 v8, v[128:131] offset:32
	;; [unrolled: 1-line block ×13, first 2 shown]
	s_clause 0x3
	buffer_load_dword v0, off, s[60:63], 0 offset:12
	buffer_load_dword v1, off, s[60:63], 0 offset:16
	;; [unrolled: 1-line block ×4, first 2 shown]
	s_waitcnt vmcnt(0)
	ds_write_b128 v8, v[0:3] offset:224
	ds_write_b128 v8, v[156:159] offset:240
	;; [unrolled: 1-line block ×3, first 2 shown]
.LBB0_17:
	s_or_b32 exec_lo, exec_lo, s1
	s_waitcnt lgkmcnt(0)
	s_waitcnt_vscnt null, 0x0
	s_barrier
	buffer_gl0_inv
	ds_read_b128 v[4:7], v255
	ds_read_b128 v[0:3], v255 offset:1360
	ds_read_b128 v[116:119], v255 offset:2720
	;; [unrolled: 1-line block ×12, first 2 shown]
	s_mov_b32 s22, 0x4267c47c
	s_mov_b32 s23, 0xbfddbe06
	;; [unrolled: 1-line block ×8, first 2 shown]
	s_waitcnt lgkmcnt(11)
	v_mul_f64 v[8:9], v[82:83], v[2:3]
	s_mov_b32 s42, 0x4bc48dbf
	s_mov_b32 s27, 0x3fddbe06
	s_mov_b32 s26, s22
	s_mov_b32 s17, 0xbfea55e2
	s_mov_b32 s3, 0xbfefc445
	s_mov_b32 s29, 0xbfedeba7
	s_mov_b32 s37, 0xbfe5384d
	s_mov_b32 s43, 0xbfcea1e5
	s_mov_b32 s18, 0x1ea71119
	s_mov_b32 s8, 0xebaa3ed8
	s_mov_b32 s30, 0xb2365da1
	s_mov_b32 s38, 0xd0032e0c
	s_mov_b32 s44, 0x93053d00
	s_mov_b32 s19, 0x3fe22d96
	s_mov_b32 s9, 0x3fbedb7d
	s_mov_b32 s31, 0xbfd6b1d8
	s_mov_b32 s39, 0xbfe7f3cc
	s_mov_b32 s45, 0xbfef11f4
	s_mov_b32 s21, 0x3fea55e2
	s_mov_b32 s20, s16
	s_mov_b32 s11, 0x3fefc445
	v_fma_f64 v[8:9], v[80:81], v[0:1], v[8:9]
	v_mul_f64 v[0:1], v[82:83], v[0:1]
	s_mov_b32 s10, s2
	s_mov_b32 s35, 0x3fedeba7
	;; [unrolled: 1-line block ×7, first 2 shown]
	s_waitcnt lgkmcnt(0)
	s_barrier
	buffer_gl0_inv
	v_add_nc_u32_e32 v134, 0x550, v233
	v_fma_f64 v[10:11], v[80:81], v[2:3], -v[0:1]
	v_mul_f64 v[0:1], v[78:79], v[118:119]
	v_add_f64 v[2:3], v[6:7], v[10:11]
	v_fma_f64 v[114:115], v[76:77], v[116:117], v[0:1]
	v_mul_f64 v[0:1], v[78:79], v[116:117]
	v_fma_f64 v[116:117], v[76:77], v[118:119], -v[0:1]
	v_mul_f64 v[0:1], v[74:75], v[122:123]
	v_add_f64 v[2:3], v[2:3], v[116:117]
	v_fma_f64 v[112:113], v[72:73], v[120:121], v[0:1]
	v_mul_f64 v[0:1], v[74:75], v[120:121]
	;; [unrolled: 5-line block ×9, first 2 shown]
	v_add_f64 v[126:127], v[112:113], v[84:85]
	v_fma_f64 v[82:83], v[92:93], v[153:154], -v[0:1]
	v_mul_f64 v[0:1], v[98:99], v[157:158]
	v_add_f64 v[128:129], v[112:113], -v[84:85]
	v_add_f64 v[2:3], v[2:3], v[82:83]
	v_fma_f64 v[86:87], v[96:97], v[155:156], v[0:1]
	v_mul_f64 v[0:1], v[98:99], v[155:156]
	v_fma_f64 v[88:89], v[96:97], v[157:158], -v[0:1]
	v_mul_f64 v[0:1], v[102:103], v[161:162]
	v_add_f64 v[2:3], v[2:3], v[88:89]
	v_fma_f64 v[12:13], v[100:101], v[159:160], v[0:1]
	v_mul_f64 v[0:1], v[102:103], v[159:160]
	v_add_f64 v[90:91], v[8:9], v[12:13]
	v_fma_f64 v[14:15], v[100:101], v[161:162], -v[0:1]
	v_add_f64 v[0:1], v[4:5], v[8:9]
	v_add_f64 v[92:93], v[8:9], -v[12:13]
	v_add_f64 v[96:97], v[10:11], -v[14:15]
	v_add_f64 v[0:1], v[0:1], v[114:115]
	v_add_f64 v[94:95], v[10:11], v[14:15]
	;; [unrolled: 1-line block ×3, first 2 shown]
	v_mul_f64 v[8:9], v[96:97], s[22:23]
	v_add_f64 v[0:1], v[0:1], v[112:113]
	v_mul_f64 v[16:17], v[96:97], s[2:3]
	v_mul_f64 v[24:25], v[96:97], s[28:29]
	;; [unrolled: 1-line block ×6, first 2 shown]
	v_fma_f64 v[10:11], v[90:91], s[24:25], v[8:9]
	v_add_f64 v[0:1], v[0:1], v[72:73]
	v_fma_f64 v[8:9], v[90:91], s[24:25], -v[8:9]
	v_fma_f64 v[18:19], v[90:91], s[8:9], v[16:17]
	v_fma_f64 v[16:17], v[90:91], s[8:9], -v[16:17]
	v_fma_f64 v[26:27], v[90:91], s[30:31], v[24:25]
	;; [unrolled: 2-line block ×4, first 2 shown]
	v_fma_f64 v[20:21], v[92:93], s[2:3], v[20:21]
	v_fma_f64 v[30:31], v[92:93], s[34:35], v[28:29]
	;; [unrolled: 1-line block ×5, first 2 shown]
	v_add_f64 v[98:99], v[4:5], v[10:11]
	v_add_f64 v[0:1], v[0:1], v[68:69]
	v_mul_f64 v[10:11], v[94:95], s[24:25]
	v_add_f64 v[102:103], v[4:5], v[8:9]
	v_add_f64 v[18:19], v[4:5], v[18:19]
	;; [unrolled: 1-line block ×14, first 2 shown]
	v_fma_f64 v[8:9], v[92:93], s[22:23], v[10:11]
	v_add_f64 v[0:1], v[0:1], v[62:63]
	v_add_f64 v[118:119], v[6:7], v[8:9]
	v_mul_f64 v[8:9], v[96:97], s[16:17]
	v_mul_f64 v[96:97], v[96:97], s[42:43]
	v_add_f64 v[0:1], v[0:1], v[70:71]
	v_fma_f64 v[108:109], v[90:91], s[44:45], v[96:97]
	v_add_f64 v[0:1], v[0:1], v[76:77]
	v_add_f64 v[108:109], v[4:5], v[108:109]
	v_add_f64 v[0:1], v[0:1], v[84:85]
	v_add_f64 v[0:1], v[0:1], v[86:87]
	v_add_f64 v[0:1], v[0:1], v[12:13]
	v_fma_f64 v[12:13], v[92:93], s[26:27], v[10:11]
	v_fma_f64 v[10:11], v[90:91], s[18:19], v[8:9]
	v_fma_f64 v[8:9], v[90:91], s[18:19], -v[8:9]
	v_fma_f64 v[90:91], v[90:91], s[44:45], -v[96:97]
	v_add_f64 v[100:101], v[6:7], v[12:13]
	v_mul_f64 v[12:13], v[94:95], s[18:19]
	v_mul_f64 v[94:95], v[94:95], s[44:45]
	v_add_f64 v[10:11], v[4:5], v[10:11]
	v_add_f64 v[8:9], v[4:5], v[8:9]
	;; [unrolled: 1-line block ×3, first 2 shown]
	v_fma_f64 v[14:15], v[92:93], s[20:21], v[12:13]
	v_fma_f64 v[12:13], v[92:93], s[16:17], v[12:13]
	;; [unrolled: 1-line block ×4, first 2 shown]
	v_add_f64 v[92:93], v[116:117], v[88:89]
	v_add_f64 v[88:89], v[116:117], -v[88:89]
	v_add_f64 v[14:15], v[6:7], v[14:15]
	v_add_f64 v[12:13], v[6:7], v[12:13]
	;; [unrolled: 1-line block ×5, first 2 shown]
	v_mul_f64 v[94:95], v[88:89], s[16:17]
	v_add_f64 v[86:87], v[114:115], -v[86:87]
	v_fma_f64 v[96:97], v[90:91], s[18:19], v[94:95]
	v_fma_f64 v[94:95], v[90:91], s[18:19], -v[94:95]
	v_add_f64 v[96:97], v[96:97], v[98:99]
	v_mul_f64 v[98:99], v[92:93], s[18:19]
	v_add_f64 v[94:95], v[94:95], v[102:103]
	v_mul_f64 v[102:103], v[88:89], s[28:29]
	v_fma_f64 v[114:115], v[86:87], s[20:21], v[98:99]
	v_fma_f64 v[98:99], v[86:87], s[16:17], v[98:99]
	v_add_f64 v[100:101], v[114:115], v[100:101]
	v_fma_f64 v[114:115], v[90:91], s[30:31], v[102:103]
	v_fma_f64 v[102:103], v[90:91], s[30:31], -v[102:103]
	v_add_f64 v[98:99], v[98:99], v[118:119]
	v_add_f64 v[10:11], v[114:115], v[10:11]
	v_mul_f64 v[114:115], v[92:93], s[30:31]
	v_add_f64 v[8:9], v[102:103], v[8:9]
	v_fma_f64 v[102:103], v[86:87], s[28:29], v[114:115]
	v_fma_f64 v[116:117], v[86:87], s[34:35], v[114:115]
	v_add_f64 v[12:13], v[102:103], v[12:13]
	v_mul_f64 v[102:103], v[88:89], s[42:43]
	v_add_f64 v[14:15], v[116:117], v[14:15]
	v_fma_f64 v[114:115], v[90:91], s[44:45], v[102:103]
	v_fma_f64 v[102:103], v[90:91], s[44:45], -v[102:103]
	v_add_f64 v[18:19], v[114:115], v[18:19]
	v_mul_f64 v[114:115], v[92:93], s[44:45]
	v_add_f64 v[16:17], v[102:103], v[16:17]
	v_fma_f64 v[102:103], v[86:87], s[42:43], v[114:115]
	v_fma_f64 v[116:117], v[86:87], s[46:47], v[114:115]
	v_add_f64 v[20:21], v[102:103], v[20:21]
	v_mul_f64 v[102:103], v[88:89], s[40:41]
	v_add_f64 v[22:23], v[116:117], v[22:23]
	v_fma_f64 v[114:115], v[90:91], s[38:39], v[102:103]
	v_fma_f64 v[102:103], v[90:91], s[38:39], -v[102:103]
	v_add_f64 v[26:27], v[114:115], v[26:27]
	v_mul_f64 v[114:115], v[92:93], s[38:39]
	v_add_f64 v[24:25], v[102:103], v[24:25]
	v_fma_f64 v[102:103], v[86:87], s[40:41], v[114:115]
	v_fma_f64 v[116:117], v[86:87], s[36:37], v[114:115]
	v_add_f64 v[28:29], v[102:103], v[28:29]
	v_mul_f64 v[102:103], v[88:89], s[10:11]
	v_mul_f64 v[88:89], v[88:89], s[26:27]
	v_add_f64 v[30:31], v[116:117], v[30:31]
	v_fma_f64 v[114:115], v[90:91], s[8:9], v[102:103]
	v_fma_f64 v[102:103], v[90:91], s[8:9], -v[102:103]
	v_add_f64 v[34:35], v[114:115], v[34:35]
	v_mul_f64 v[114:115], v[92:93], s[8:9]
	v_add_f64 v[32:33], v[102:103], v[32:33]
	v_mul_f64 v[92:93], v[92:93], s[24:25]
	v_fma_f64 v[102:103], v[86:87], s[10:11], v[114:115]
	v_fma_f64 v[116:117], v[86:87], s[2:3], v[114:115]
	v_add_f64 v[104:105], v[102:103], v[104:105]
	v_fma_f64 v[102:103], v[90:91], s[24:25], v[88:89]
	v_fma_f64 v[88:89], v[90:91], s[24:25], -v[88:89]
	v_add_f64 v[90:91], v[80:81], -v[82:83]
	v_add_f64 v[106:107], v[116:117], v[106:107]
	v_add_f64 v[108:109], v[102:103], v[108:109]
	;; [unrolled: 1-line block ×3, first 2 shown]
	v_fma_f64 v[4:5], v[86:87], s[26:27], v[92:93]
	v_fma_f64 v[102:103], v[86:87], s[22:23], v[92:93]
	v_add_f64 v[92:93], v[80:81], v[82:83]
	v_add_f64 v[124:125], v[4:5], v[6:7]
	v_mul_f64 v[4:5], v[90:91], s[2:3]
	v_add_f64 v[110:111], v[102:103], v[110:111]
	v_fma_f64 v[6:7], v[126:127], s[8:9], v[4:5]
	v_fma_f64 v[4:5], v[126:127], s[8:9], -v[4:5]
	v_add_f64 v[130:131], v[6:7], v[96:97]
	v_mul_f64 v[6:7], v[92:93], s[8:9]
	v_add_f64 v[137:138], v[4:5], v[94:95]
	v_fma_f64 v[4:5], v[128:129], s[2:3], v[6:7]
	v_fma_f64 v[80:81], v[128:129], s[10:11], v[6:7]
	v_add_f64 v[139:140], v[4:5], v[98:99]
	v_mul_f64 v[4:5], v[90:91], s[42:43]
	v_add_f64 v[135:136], v[80:81], v[100:101]
	v_fma_f64 v[6:7], v[126:127], s[44:45], v[4:5]
	v_fma_f64 v[4:5], v[126:127], s[44:45], -v[4:5]
	v_add_f64 v[132:133], v[6:7], v[10:11]
	v_mul_f64 v[6:7], v[92:93], s[44:45]
	v_add_f64 v[118:119], v[4:5], v[8:9]
	v_fma_f64 v[4:5], v[128:129], s[42:43], v[6:7]
	v_fma_f64 v[10:11], v[128:129], s[46:47], v[6:7]
	;; [unrolled: 10-line block ×3, first 2 shown]
	v_mul_f64 v[6:7], v[90:91], s[26:27]
	v_add_f64 v[100:101], v[8:9], v[22:23]
	v_add_f64 v[112:113], v[4:5], v[20:21]
	v_fma_f64 v[4:5], v[126:127], s[24:25], v[6:7]
	v_mul_f64 v[8:9], v[92:93], s[24:25]
	v_fma_f64 v[6:7], v[126:127], s[24:25], -v[6:7]
	v_add_f64 v[98:99], v[4:5], v[26:27]
	v_fma_f64 v[4:5], v[128:129], s[22:23], v[8:9]
	v_fma_f64 v[8:9], v[128:129], s[26:27], v[8:9]
	v_add_f64 v[6:7], v[6:7], v[24:25]
	v_add_f64 v[4:5], v[4:5], v[30:31]
	;; [unrolled: 1-line block ×3, first 2 shown]
	v_mul_f64 v[8:9], v[90:91], s[16:17]
	v_fma_f64 v[10:11], v[126:127], s[18:19], v[8:9]
	v_fma_f64 v[8:9], v[126:127], s[18:19], -v[8:9]
	v_add_f64 v[82:83], v[10:11], v[34:35]
	v_mul_f64 v[10:11], v[92:93], s[18:19]
	v_add_f64 v[86:87], v[8:9], v[32:33]
	v_fma_f64 v[8:9], v[128:129], s[16:17], v[10:11]
	v_fma_f64 v[12:13], v[128:129], s[20:21], v[10:11]
	v_add_f64 v[88:89], v[8:9], v[104:105]
	v_mul_f64 v[8:9], v[90:91], s[36:37]
	v_add_f64 v[84:85], v[12:13], v[106:107]
	v_add_f64 v[104:105], v[60:61], -v[56:57]
	v_fma_f64 v[10:11], v[126:127], s[38:39], v[8:9]
	v_fma_f64 v[8:9], v[126:127], s[38:39], -v[8:9]
	v_add_f64 v[90:91], v[10:11], v[108:109]
	v_mul_f64 v[10:11], v[92:93], s[38:39]
	v_add_f64 v[94:95], v[8:9], v[122:123]
	v_add_f64 v[122:123], v[72:73], v[76:77]
	v_add_f64 v[72:73], v[72:73], -v[76:77]
	v_fma_f64 v[8:9], v[128:129], s[36:37], v[10:11]
	v_fma_f64 v[12:13], v[128:129], s[40:41], v[10:11]
	v_add_f64 v[96:97], v[8:9], v[124:125]
	v_add_f64 v[124:125], v[74:75], v[78:79]
	v_add_f64 v[74:75], v[74:75], -v[78:79]
	v_add_f64 v[92:93], v[12:13], v[110:111]
	v_mul_f64 v[26:27], v[124:125], s[8:9]
	v_mul_f64 v[8:9], v[74:75], s[28:29]
	;; [unrolled: 1-line block ×7, first 2 shown]
	v_fma_f64 v[28:29], v[72:73], s[10:11], v[26:27]
	v_fma_f64 v[10:11], v[122:123], s[30:31], v[8:9]
	v_fma_f64 v[8:9], v[122:123], s[30:31], -v[8:9]
	v_fma_f64 v[24:25], v[122:123], s[8:9], v[22:23]
	v_fma_f64 v[22:23], v[122:123], s[8:9], -v[22:23]
	v_fma_f64 v[20:21], v[72:73], s[22:23], v[18:19]
	v_fma_f64 v[18:19], v[72:73], s[26:27], v[18:19]
	v_fma_f64 v[32:33], v[72:73], s[42:43], v[30:31]
	v_fma_f64 v[30:31], v[72:73], s[46:47], v[30:31]
	v_fma_f64 v[16:17], v[122:123], s[24:25], v[14:15]
	v_fma_f64 v[14:15], v[122:123], s[24:25], -v[14:15]
	v_add_f64 v[4:5], v[28:29], v[4:5]
	v_add_f64 v[78:79], v[10:11], v[130:131]
	v_mul_f64 v[10:11], v[124:125], s[30:31]
	v_add_f64 v[128:129], v[8:9], v[137:138]
	v_add_f64 v[6:7], v[22:23], v[6:7]
	v_fma_f64 v[22:23], v[72:73], s[2:3], v[26:27]
	v_mul_f64 v[26:27], v[74:75], s[46:47]
	v_add_f64 v[32:33], v[32:33], v[84:85]
	v_add_f64 v[84:85], v[68:69], v[70:71]
	v_add_f64 v[70:71], v[68:69], -v[70:71]
	v_add_f64 v[30:31], v[30:31], v[88:89]
	v_add_f64 v[16:17], v[16:17], v[114:115]
	;; [unrolled: 1-line block ×6, first 2 shown]
	v_fma_f64 v[8:9], v[72:73], s[28:29], v[10:11]
	v_fma_f64 v[12:13], v[72:73], s[34:35], v[10:11]
	v_add_f64 v[22:23], v[22:23], v[80:81]
	v_fma_f64 v[28:29], v[122:123], s[44:45], v[26:27]
	v_mul_f64 v[80:81], v[124:125], s[18:19]
	v_fma_f64 v[26:27], v[122:123], s[44:45], -v[26:27]
	v_add_f64 v[130:131], v[8:9], v[139:140]
	v_mul_f64 v[8:9], v[74:75], s[40:41]
	v_add_f64 v[126:127], v[12:13], v[135:136]
	v_fma_f64 v[74:75], v[122:123], s[18:19], v[34:35]
	v_add_f64 v[28:29], v[28:29], v[82:83]
	v_fma_f64 v[82:83], v[72:73], s[16:17], v[80:81]
	v_add_f64 v[26:27], v[26:27], v[86:87]
	v_fma_f64 v[34:35], v[122:123], s[18:19], -v[34:35]
	v_fma_f64 v[10:11], v[122:123], s[38:39], v[8:9]
	v_fma_f64 v[8:9], v[122:123], s[38:39], -v[8:9]
	v_add_f64 v[74:75], v[74:75], v[90:91]
	v_add_f64 v[82:83], v[82:83], v[92:93]
	;; [unrolled: 1-line block ×4, first 2 shown]
	v_mul_f64 v[10:11], v[124:125], s[38:39]
	v_add_f64 v[8:9], v[8:9], v[118:119]
	v_fma_f64 v[12:13], v[72:73], s[36:37], v[10:11]
	v_fma_f64 v[10:11], v[72:73], s[40:41], v[10:11]
	;; [unrolled: 1-line block ×3, first 2 shown]
	v_add_f64 v[12:13], v[12:13], v[116:117]
	v_add_f64 v[10:11], v[10:11], v[120:121]
	;; [unrolled: 1-line block ×4, first 2 shown]
	v_add_f64 v[58:59], v[66:67], -v[58:59]
	v_mul_f64 v[66:67], v[58:59], s[36:37]
	v_fma_f64 v[68:69], v[84:85], s[38:39], v[66:67]
	v_fma_f64 v[66:67], v[84:85], s[38:39], -v[66:67]
	v_add_f64 v[78:79], v[68:69], v[78:79]
	v_mul_f64 v[68:69], v[72:73], s[38:39]
	v_add_f64 v[88:89], v[66:67], v[128:129]
	v_fma_f64 v[66:67], v[70:71], s[36:37], v[68:69]
	v_fma_f64 v[86:87], v[70:71], s[40:41], v[68:69]
	v_add_f64 v[90:91], v[66:67], v[130:131]
	v_mul_f64 v[66:67], v[58:59], s[10:11]
	v_add_f64 v[86:87], v[86:87], v[126:127]
	v_fma_f64 v[68:69], v[84:85], s[8:9], v[66:67]
	v_fma_f64 v[66:67], v[84:85], s[8:9], -v[66:67]
	v_add_f64 v[92:93], v[68:69], v[76:77]
	v_mul_f64 v[68:69], v[72:73], s[8:9]
	v_add_f64 v[8:9], v[66:67], v[8:9]
	v_fma_f64 v[66:67], v[70:71], s[10:11], v[68:69]
	v_fma_f64 v[76:77], v[70:71], s[2:3], v[68:69]
	v_add_f64 v[10:11], v[66:67], v[10:11]
	v_mul_f64 v[66:67], v[58:59], s[16:17]
	v_add_f64 v[12:13], v[76:77], v[12:13]
	;; [unrolled: 10-line block ×3, first 2 shown]
	v_fma_f64 v[68:69], v[84:85], s[44:45], v[66:67]
	v_add_f64 v[24:25], v[68:69], v[24:25]
	v_mul_f64 v[68:69], v[72:73], s[44:45]
	v_fma_f64 v[76:77], v[70:71], s[42:43], v[68:69]
	v_add_f64 v[94:95], v[76:77], v[4:5]
	v_fma_f64 v[4:5], v[84:85], s[44:45], -v[66:67]
	v_add_f64 v[96:97], v[4:5], v[6:7]
	v_fma_f64 v[4:5], v[70:71], s[46:47], v[68:69]
	v_add_f64 v[22:23], v[4:5], v[22:23]
	v_mul_f64 v[4:5], v[58:59], s[26:27]
	v_fma_f64 v[6:7], v[84:85], s[24:25], v[4:5]
	v_fma_f64 v[4:5], v[84:85], s[24:25], -v[4:5]
	v_add_f64 v[28:29], v[6:7], v[28:29]
	v_mul_f64 v[6:7], v[72:73], s[24:25]
	v_add_f64 v[26:27], v[4:5], v[26:27]
	v_fma_f64 v[4:5], v[70:71], s[26:27], v[6:7]
	v_fma_f64 v[66:67], v[70:71], s[22:23], v[6:7]
	v_add_f64 v[30:31], v[4:5], v[30:31]
	v_mul_f64 v[4:5], v[58:59], s[28:29]
	v_add_f64 v[32:33], v[66:67], v[32:33]
	v_fma_f64 v[6:7], v[84:85], s[30:31], v[4:5]
	v_fma_f64 v[4:5], v[84:85], s[30:31], -v[4:5]
	v_add_f64 v[102:103], v[6:7], v[74:75]
	v_mul_f64 v[6:7], v[72:73], s[30:31]
	v_add_f64 v[68:69], v[4:5], v[34:35]
	v_add_f64 v[34:35], v[60:61], v[56:57]
	v_fma_f64 v[4:5], v[70:71], s[28:29], v[6:7]
	v_fma_f64 v[58:59], v[70:71], s[34:35], v[6:7]
	v_add_f64 v[70:71], v[64:65], v[62:63]
	v_add_f64 v[64:65], v[64:65], -v[62:63]
	v_add_f64 v[66:67], v[4:5], v[80:81]
	v_mul_f64 v[4:5], v[104:105], s[42:43]
	v_add_f64 v[72:73], v[58:59], v[82:83]
	v_fma_f64 v[6:7], v[70:71], s[44:45], v[4:5]
	v_fma_f64 v[4:5], v[70:71], s[44:45], -v[4:5]
	v_add_f64 v[74:75], v[6:7], v[78:79]
	v_mul_f64 v[6:7], v[34:35], s[44:45]
	v_fma_f64 v[56:57], v[64:65], s[46:47], v[6:7]
	v_add_f64 v[76:77], v[56:57], v[86:87]
	v_add_f64 v[56:57], v[4:5], v[88:89]
	v_fma_f64 v[4:5], v[64:65], s[42:43], v[6:7]
	v_add_f64 v[58:59], v[4:5], v[90:91]
	v_mul_f64 v[4:5], v[104:105], s[26:27]
	v_fma_f64 v[6:7], v[70:71], s[24:25], v[4:5]
	v_fma_f64 v[4:5], v[70:71], s[24:25], -v[4:5]
	v_add_f64 v[78:79], v[6:7], v[92:93]
	v_mul_f64 v[6:7], v[34:35], s[24:25]
	v_fma_f64 v[60:61], v[64:65], s[22:23], v[6:7]
	v_add_f64 v[80:81], v[60:61], v[12:13]
	v_add_f64 v[60:61], v[4:5], v[8:9]
	v_fma_f64 v[4:5], v[64:65], s[26:27], v[6:7]
	v_add_f64 v[62:63], v[4:5], v[10:11]
	v_mul_f64 v[4:5], v[104:105], s[36:37]
	v_fma_f64 v[6:7], v[70:71], s[38:39], v[4:5]
	v_fma_f64 v[4:5], v[70:71], s[38:39], -v[4:5]
	v_add_f64 v[82:83], v[6:7], v[16:17]
	v_mul_f64 v[6:7], v[34:35], s[38:39]
	v_add_f64 v[4:5], v[4:5], v[14:15]
	v_fma_f64 v[8:9], v[64:65], s[40:41], v[6:7]
	v_fma_f64 v[6:7], v[64:65], s[36:37], v[6:7]
	v_add_f64 v[84:85], v[8:9], v[20:21]
	v_mul_f64 v[8:9], v[104:105], s[20:21]
	v_add_f64 v[6:7], v[6:7], v[18:19]
	v_fma_f64 v[10:11], v[70:71], s[18:19], v[8:9]
	v_fma_f64 v[8:9], v[70:71], s[18:19], -v[8:9]
	v_add_f64 v[86:87], v[10:11], v[24:25]
	v_mul_f64 v[10:11], v[34:35], s[18:19]
	v_add_f64 v[90:91], v[8:9], v[96:97]
	v_fma_f64 v[8:9], v[64:65], s[20:21], v[10:11]
	v_fma_f64 v[12:13], v[64:65], s[16:17], v[10:11]
	v_add_f64 v[92:93], v[8:9], v[22:23]
	v_mul_f64 v[8:9], v[104:105], s[28:29]
	v_add_f64 v[88:89], v[12:13], v[94:95]
	;; [unrolled: 10-line block ×3, first 2 shown]
	v_fma_f64 v[10:11], v[70:71], s[8:9], v[8:9]
	v_fma_f64 v[8:9], v[70:71], s[8:9], -v[8:9]
	v_add_f64 v[112:113], v[10:11], v[102:103]
	v_mul_f64 v[10:11], v[34:35], s[8:9]
	v_add_f64 v[68:69], v[8:9], v[68:69]
	v_fma_f64 v[12:13], v[64:65], s[2:3], v[10:11]
	v_fma_f64 v[8:9], v[64:65], s[10:11], v[10:11]
	v_add_f64 v[114:115], v[12:13], v[72:73]
	v_add_f64 v[70:71], v[8:9], v[66:67]
	ds_write_b128 v227, v[0:3]
	ds_write_b128 v227, v[74:77] offset:272
	ds_write_b128 v227, v[78:81] offset:544
	;; [unrolled: 1-line block ×12, first 2 shown]
	s_waitcnt lgkmcnt(0)
	s_barrier
	buffer_gl0_inv
	ds_read_b128 v[64:67], v255
	ds_read_b128 v[96:99], v255 offset:3536
	ds_read_b128 v[92:95], v255 offset:7072
	;; [unrolled: 1-line block ×9, first 2 shown]
	s_and_saveexec_b32 s1, s0
	s_cbranch_execz .LBB0_19
; %bb.18:
	ds_read_b128 v[4:7], v255 offset:2720
	ds_read_b128 v[60:63], v255 offset:6256
	;; [unrolled: 1-line block ×5, first 2 shown]
	s_waitcnt lgkmcnt(0)
	buffer_store_dword v8, off, s[60:63], 0 offset:12 ; 4-byte Folded Spill
	buffer_store_dword v9, off, s[60:63], 0 offset:16 ; 4-byte Folded Spill
	;; [unrolled: 1-line block ×4, first 2 shown]
.LBB0_19:
	s_or_b32 exec_lo, exec_lo, s1
	s_clause 0x3
	buffer_load_dword v100, off, s[60:63], 0 offset:36
	buffer_load_dword v101, off, s[60:63], 0 offset:40
	;; [unrolled: 1-line block ×4, first 2 shown]
	s_waitcnt lgkmcnt(7)
	v_mul_f64 v[12:13], v[42:43], v[94:95]
	v_mul_f64 v[14:15], v[42:43], v[92:93]
	s_waitcnt lgkmcnt(6)
	v_mul_f64 v[16:17], v[46:47], v[86:87]
	s_waitcnt lgkmcnt(5)
	v_mul_f64 v[20:21], v[54:55], v[90:91]
	v_mul_f64 v[22:23], v[46:47], v[84:85]
	;; [unrolled: 1-line block ×3, first 2 shown]
	s_waitcnt lgkmcnt(1)
	v_mul_f64 v[28:29], v[38:39], v[78:79]
	s_waitcnt lgkmcnt(0)
	v_mul_f64 v[34:35], v[50:51], v[82:83]
	v_mul_f64 v[38:39], v[38:39], v[76:77]
	v_mul_f64 v[42:43], v[50:51], v[80:81]
	s_mov_b32 s8, 0x134454ff
	s_mov_b32 s9, 0xbfee6f0e
	;; [unrolled: 1-line block ×10, first 2 shown]
	v_fma_f64 v[12:13], v[40:41], v[92:93], v[12:13]
	v_fma_f64 v[14:15], v[40:41], v[94:95], -v[14:15]
	v_fma_f64 v[16:17], v[44:45], v[84:85], v[16:17]
	v_fma_f64 v[20:21], v[52:53], v[88:89], v[20:21]
	v_fma_f64 v[22:23], v[44:45], v[86:87], -v[22:23]
	v_fma_f64 v[18:19], v[52:53], v[90:91], -v[18:19]
	v_fma_f64 v[28:29], v[36:37], v[76:77], v[28:29]
	v_fma_f64 v[40:41], v[48:49], v[80:81], v[34:35]
	v_fma_f64 v[34:35], v[36:37], v[78:79], -v[38:39]
	v_fma_f64 v[42:43], v[48:49], v[82:83], -v[42:43]
	v_add_f64 v[38:39], v[12:13], v[16:17]
	v_add_f64 v[54:55], v[20:21], -v[16:17]
	v_add_f64 v[52:53], v[14:15], v[22:23]
	v_add_f64 v[48:49], v[14:15], -v[22:23]
	v_add_f64 v[78:79], v[12:13], -v[16:17]
	;; [unrolled: 1-line block ×4, first 2 shown]
	v_fma_f64 v[38:39], v[38:39], -0.5, v[64:65]
	v_fma_f64 v[52:53], v[52:53], -0.5, v[66:67]
	s_waitcnt vmcnt(0)
	v_mul_f64 v[8:9], v[102:103], v[98:99]
	v_mul_f64 v[10:11], v[102:103], v[96:97]
	s_clause 0x7
	buffer_load_dword v102, off, s[60:63], 0 offset:52
	buffer_load_dword v103, off, s[60:63], 0 offset:56
	;; [unrolled: 1-line block ×8, first 2 shown]
	v_fma_f64 v[8:9], v[100:101], v[96:97], v[8:9]
	v_fma_f64 v[10:11], v[100:101], v[98:99], -v[10:11]
	v_add_f64 v[98:99], v[40:41], -v[28:29]
	v_add_f64 v[46:47], v[8:9], v[20:21]
	v_add_f64 v[36:37], v[64:65], v[8:9]
	v_add_f64 v[44:45], v[10:11], -v[18:19]
	v_add_f64 v[50:51], v[8:9], -v[12:13]
	;; [unrolled: 1-line block ×3, first 2 shown]
	v_fma_f64 v[46:47], v[46:47], -0.5, v[64:65]
	v_add_f64 v[50:51], v[50:51], v[54:55]
	s_waitcnt vmcnt(4)
	v_mul_f64 v[24:25], v[104:105], v[70:71]
	s_waitcnt vmcnt(0)
	v_mul_f64 v[26:27], v[108:109], v[74:75]
	v_mul_f64 v[30:31], v[104:105], v[68:69]
	;; [unrolled: 1-line block ×3, first 2 shown]
	v_fma_f64 v[108:109], v[48:49], s[16:17], v[46:47]
	v_fma_f64 v[46:47], v[48:49], s[8:9], v[46:47]
	;; [unrolled: 1-line block ×4, first 2 shown]
	v_fma_f64 v[30:31], v[102:103], v[70:71], -v[30:31]
	v_fma_f64 v[32:33], v[106:107], v[74:75], -v[32:33]
	v_add_f64 v[70:71], v[10:11], v[18:19]
	v_add_f64 v[74:75], v[66:67], v[10:11]
	v_add_f64 v[68:69], v[12:13], -v[8:9]
	v_add_f64 v[8:9], v[8:9], -v[20:21]
	;; [unrolled: 1-line block ×4, first 2 shown]
	v_add_f64 v[12:13], v[36:37], v[12:13]
	v_add_f64 v[36:37], v[42:43], -v[34:35]
	v_add_f64 v[82:83], v[24:25], v[40:41]
	v_add_f64 v[76:77], v[26:27], v[28:29]
	;; [unrolled: 1-line block ×4, first 2 shown]
	v_fma_f64 v[66:67], v[70:71], -0.5, v[66:67]
	v_add_f64 v[92:93], v[0:1], v[24:25]
	v_add_f64 v[102:103], v[2:3], v[30:31]
	v_add_f64 v[94:95], v[30:31], -v[42:43]
	v_add_f64 v[64:65], v[32:33], -v[34:35]
	;; [unrolled: 1-line block ×3, first 2 shown]
	v_add_f64 v[14:15], v[74:75], v[14:15]
	v_fma_f64 v[74:75], v[8:9], s[16:17], v[52:53]
	v_fma_f64 v[52:53], v[8:9], s[8:9], v[52:53]
	v_add_f64 v[96:97], v[24:25], -v[26:27]
	v_add_f64 v[100:101], v[26:27], -v[24:25]
	;; [unrolled: 1-line block ×5, first 2 shown]
	v_add_f64 v[68:69], v[68:69], v[72:73]
	v_add_f64 v[12:13], v[12:13], v[16:17]
	;; [unrolled: 1-line block ×3, first 2 shown]
	v_add_f64 v[70:71], v[28:29], -v[40:41]
	v_fma_f64 v[76:77], v[76:77], -0.5, v[0:1]
	v_fma_f64 v[0:1], v[82:83], -0.5, v[0:1]
	;; [unrolled: 1-line block ×4, first 2 shown]
	v_fma_f64 v[90:91], v[44:45], s[8:9], v[38:39]
	v_fma_f64 v[38:39], v[44:45], s[16:17], v[38:39]
	;; [unrolled: 1-line block ×4, first 2 shown]
	v_add_f64 v[26:27], v[92:93], v[26:27]
	v_add_f64 v[32:33], v[102:103], v[32:33]
	;; [unrolled: 1-line block ×3, first 2 shown]
	v_fma_f64 v[22:23], v[78:79], s[10:11], v[74:75]
	v_add_f64 v[86:87], v[34:35], -v[42:43]
	v_fma_f64 v[52:53], v[78:79], s[2:3], v[52:53]
	v_add_f64 v[70:71], v[100:101], v[70:71]
	v_fma_f64 v[72:73], v[94:95], s[8:9], v[76:77]
	v_fma_f64 v[76:77], v[94:95], s[16:17], v[76:77]
	;; [unrolled: 1-line block ×10, first 2 shown]
	v_add_f64 v[46:47], v[80:81], v[84:85]
	v_fma_f64 v[54:55], v[8:9], s[10:11], v[54:55]
	v_fma_f64 v[8:9], v[8:9], s[2:3], v[66:67]
	v_add_f64 v[26:27], v[26:27], v[28:29]
	v_add_f64 v[78:79], v[32:33], v[34:35]
	v_fma_f64 v[16:17], v[24:25], s[16:17], v[82:83]
	v_fma_f64 v[82:83], v[24:25], s[8:9], v[82:83]
	v_add_f64 v[80:81], v[106:107], v[36:37]
	;; [unrolled: 4-line block ×3, first 2 shown]
	v_fma_f64 v[76:77], v[94:95], s[10:11], v[0:1]
	v_fma_f64 v[84:85], v[24:25], s[10:11], v[102:103]
	;; [unrolled: 1-line block ×3, first 2 shown]
	v_add_f64 v[0:1], v[12:13], v[20:21]
	v_add_f64 v[2:3], v[14:15], v[18:19]
	v_fma_f64 v[12:13], v[50:51], s[18:19], v[90:91]
	v_fma_f64 v[32:33], v[68:69], s[18:19], v[48:49]
	;; [unrolled: 1-line block ×8, first 2 shown]
	v_add_f64 v[40:41], v[26:27], v[40:41]
	v_add_f64 v[42:43], v[78:79], v[42:43]
	v_fma_f64 v[16:17], v[104:105], s[10:11], v[16:17]
	ds_write_b128 v228, v[0:3]
	ds_write_b128 v228, v[12:15] offset:3536
	ds_write_b128 v228, v[32:35] offset:7072
	;; [unrolled: 1-line block ×5, first 2 shown]
	s_clause 0x1
	buffer_load_dword v0, off, s[60:63], 0
	buffer_load_dword v1, off, s[60:63], 0 offset:4
	v_fma_f64 v[74:75], v[94:95], s[2:3], v[92:93]
	v_fma_f64 v[82:83], v[104:105], s[2:3], v[82:83]
	;; [unrolled: 1-line block ×10, first 2 shown]
	ds_write_b128 v134, v[44:47] offset:3536
	ds_write_b128 v134, v[52:55] offset:7072
	;; [unrolled: 1-line block ×4, first 2 shown]
	s_waitcnt vmcnt(1)
	v_lshlrev_b32_e32 v0, 4, v0
	s_waitcnt vmcnt(0)
	v_lshl_add_u32 v0, v1, 4, v0
	s_and_saveexec_b32 s1, s0
	s_cbranch_execz .LBB0_21
; %bb.20:
	s_clause 0x13
	buffer_load_dword v26, off, s[60:63], 0 offset:100
	buffer_load_dword v27, off, s[60:63], 0 offset:104
	;; [unrolled: 1-line block ×20, first 2 shown]
	s_waitcnt vmcnt(16)
	v_mul_f64 v[1:2], v[28:29], v[56:57]
	s_waitcnt vmcnt(12)
	v_mul_f64 v[8:9], v[24:25], v[60:61]
	;; [unrolled: 2-line block ×4, first 2 shown]
	v_mul_f64 v[14:15], v[28:29], v[58:59]
	v_mul_f64 v[16:17], v[32:33], v[238:239]
	;; [unrolled: 1-line block ×4, first 2 shown]
	v_fma_f64 v[1:2], v[26:27], v[58:59], -v[1:2]
	v_fma_f64 v[8:9], v[22:23], v[62:63], -v[8:9]
	;; [unrolled: 1-line block ×4, first 2 shown]
	v_fma_f64 v[14:15], v[26:27], v[56:57], v[14:15]
	v_fma_f64 v[16:17], v[30:31], v[236:237], v[16:17]
	;; [unrolled: 1-line block ×4, first 2 shown]
	v_add_f64 v[34:35], v[6:7], v[8:9]
	v_add_f64 v[22:23], v[8:9], v[10:11]
	;; [unrolled: 1-line block ×3, first 2 shown]
	v_add_f64 v[38:39], v[8:9], -v[10:11]
	v_add_f64 v[26:27], v[14:15], v[16:17]
	v_add_f64 v[36:37], v[4:5], v[18:19]
	;; [unrolled: 1-line block ×3, first 2 shown]
	v_add_f64 v[30:31], v[14:15], -v[16:17]
	v_add_f64 v[32:33], v[18:19], -v[20:21]
	;; [unrolled: 1-line block ×8, first 2 shown]
	v_fma_f64 v[22:23], v[22:23], -0.5, v[6:7]
	v_fma_f64 v[6:7], v[24:25], -0.5, v[6:7]
	v_add_f64 v[24:25], v[1:2], -v[12:13]
	v_fma_f64 v[26:27], v[26:27], -0.5, v[4:5]
	v_add_f64 v[14:15], v[36:37], v[14:15]
	v_fma_f64 v[3:4], v[28:29], -0.5, v[4:5]
	v_add_f64 v[28:29], v[1:2], -v[8:9]
	v_add_f64 v[8:9], v[8:9], -v[1:2]
	v_add_f64 v[1:2], v[34:35], v[1:2]
	v_fma_f64 v[34:35], v[30:31], s[16:17], v[22:23]
	v_fma_f64 v[22:23], v[30:31], s[8:9], v[22:23]
	;; [unrolled: 1-line block ×8, first 2 shown]
	v_add_f64 v[28:29], v[28:29], v[40:41]
	v_add_f64 v[40:41], v[8:9], v[42:43]
	;; [unrolled: 1-line block ×6, first 2 shown]
	v_fma_f64 v[12:13], v[32:33], s[2:3], v[34:35]
	v_fma_f64 v[14:15], v[32:33], s[10:11], v[22:23]
	;; [unrolled: 1-line block ×8, first 2 shown]
	v_add_f64 v[3:4], v[1:2], v[10:11]
	v_add_f64 v[1:2], v[7:8], v[20:21]
	v_fma_f64 v[7:8], v[28:29], s[18:19], v[12:13]
	v_fma_f64 v[11:12], v[28:29], s[18:19], v[14:15]
	;; [unrolled: 1-line block ×8, first 2 shown]
	ds_write_b128 v0, v[1:4] offset:2720
	ds_write_b128 v0, v[17:20] offset:6256
	;; [unrolled: 1-line block ×5, first 2 shown]
.LBB0_21:
	s_or_b32 exec_lo, exec_lo, s1
	s_waitcnt lgkmcnt(0)
	s_waitcnt_vscnt null, 0x0
	s_barrier
	buffer_gl0_inv
	s_clause 0x1
	buffer_load_dword v18, off, s[60:63], 0 offset:28
	buffer_load_dword v19, off, s[60:63], 0 offset:32
	s_and_b32 s0, exec_lo, vcc_lo
	s_mov_b32 exec_lo, s0
	s_cbranch_execz .LBB0_23
; %bb.22:
	buffer_load_dword v17, off, s[60:63], 0 ; 4-byte Folded Reload
	s_waitcnt vmcnt(2)
	v_mad_u64_u32 v[15:16], null, s6, v18, 0
	s_mov_b32 s0, 0x1da7801e
	s_mov_b32 s1, 0x3f4da780
	s_mul_i32 s3, s4, 0x410
	s_waitcnt vmcnt(0)
	v_lshlrev_b32_e32 v19, 4, v17
	global_load_dwordx4 v[1:4], v19, s[12:13]
	ds_read_b128 v[5:8], v228
	ds_read_b128 v[9:12], v0 offset:1040
	s_waitcnt vmcnt(0) lgkmcnt(1)
	v_mul_f64 v[13:14], v[7:8], v[3:4]
	v_mul_f64 v[3:4], v[5:6], v[3:4]
	v_fma_f64 v[5:6], v[5:6], v[1:2], v[13:14]
	v_fma_f64 v[3:4], v[1:2], v[7:8], -v[3:4]
	v_mad_u64_u32 v[7:8], null, s4, v17, 0
	v_mov_b32_e32 v1, v16
	v_mov_b32_e32 v2, v8
	v_mad_u64_u32 v[13:14], null, s7, v18, v[1:2]
	v_mov_b32_e32 v16, v13
	v_mad_u64_u32 v[17:18], null, s5, v17, v[2:3]
	v_mul_f64 v[1:2], v[5:6], s[0:1]
	v_mul_f64 v[3:4], v[3:4], s[0:1]
	v_lshlrev_b64 v[5:6], 4, v[15:16]
	v_mov_b32_e32 v8, v17
	v_add_co_u32 v5, vcc_lo, s14, v5
	v_add_co_ci_u32_e32 v6, vcc_lo, s15, v6, vcc_lo
	v_lshlrev_b64 v[7:8], 4, v[7:8]
	v_add_co_u32 v7, vcc_lo, v5, v7
	v_add_co_ci_u32_e32 v8, vcc_lo, v6, v8, vcc_lo
	v_add_co_u32 v15, vcc_lo, v7, s3
	global_store_dwordx4 v[7:8], v[1:4], off
	global_load_dwordx4 v[1:4], v19, s[12:13] offset:1040
	s_waitcnt vmcnt(0) lgkmcnt(0)
	v_mul_f64 v[5:6], v[11:12], v[3:4]
	v_mul_f64 v[3:4], v[9:10], v[3:4]
	v_fma_f64 v[5:6], v[9:10], v[1:2], v[5:6]
	v_fma_f64 v[1:2], v[1:2], v[11:12], -v[3:4]
	v_mul_f64 v[3:4], v[5:6], s[0:1]
	v_mul_f64 v[5:6], v[1:2], s[0:1]
	v_add_co_u32 v1, s2, s12, v19
	v_add_co_ci_u32_e64 v2, null, s13, 0, s2
	s_mul_i32 s2, s5, 0x410
	s_mul_hi_u32 s5, s4, 0x410
	s_add_i32 s2, s5, s2
	v_add_co_ci_u32_e32 v16, vcc_lo, s2, v8, vcc_lo
	v_add_co_u32 v17, vcc_lo, 0x800, v1
	v_add_co_ci_u32_e32 v18, vcc_lo, 0, v2, vcc_lo
	global_store_dwordx4 v[15:16], v[3:6], off
	global_load_dwordx4 v[3:6], v[17:18], off offset:32
	ds_read_b128 v[7:10], v0 offset:2080
	ds_read_b128 v[11:14], v0 offset:3120
	s_waitcnt vmcnt(0) lgkmcnt(1)
	v_mul_f64 v[19:20], v[9:10], v[5:6]
	v_mul_f64 v[5:6], v[7:8], v[5:6]
	v_fma_f64 v[7:8], v[7:8], v[3:4], v[19:20]
	v_fma_f64 v[5:6], v[3:4], v[9:10], -v[5:6]
	v_mul_f64 v[3:4], v[7:8], s[0:1]
	v_mul_f64 v[5:6], v[5:6], s[0:1]
	v_add_co_u32 v7, vcc_lo, v15, s3
	v_add_co_ci_u32_e32 v8, vcc_lo, s2, v16, vcc_lo
	v_add_co_u32 v15, vcc_lo, v7, s3
	v_add_co_ci_u32_e32 v16, vcc_lo, s2, v8, vcc_lo
	global_store_dwordx4 v[7:8], v[3:6], off
	global_load_dwordx4 v[3:6], v[17:18], off offset:1072
	v_add_co_u32 v17, vcc_lo, 0x1000, v1
	v_add_co_ci_u32_e32 v18, vcc_lo, 0, v2, vcc_lo
	s_waitcnt vmcnt(0) lgkmcnt(0)
	v_mul_f64 v[9:10], v[13:14], v[5:6]
	v_mul_f64 v[5:6], v[11:12], v[5:6]
	v_fma_f64 v[9:10], v[11:12], v[3:4], v[9:10]
	v_fma_f64 v[5:6], v[3:4], v[13:14], -v[5:6]
	v_mul_f64 v[3:4], v[9:10], s[0:1]
	v_mul_f64 v[5:6], v[5:6], s[0:1]
	global_store_dwordx4 v[15:16], v[3:6], off
	global_load_dwordx4 v[3:6], v[17:18], off offset:64
	ds_read_b128 v[7:10], v0 offset:4160
	ds_read_b128 v[11:14], v0 offset:5200
	s_waitcnt vmcnt(0) lgkmcnt(1)
	v_mul_f64 v[19:20], v[9:10], v[5:6]
	v_mul_f64 v[5:6], v[7:8], v[5:6]
	v_fma_f64 v[7:8], v[7:8], v[3:4], v[19:20]
	v_fma_f64 v[5:6], v[3:4], v[9:10], -v[5:6]
	v_mul_f64 v[3:4], v[7:8], s[0:1]
	v_mul_f64 v[5:6], v[5:6], s[0:1]
	v_add_co_u32 v7, vcc_lo, v15, s3
	v_add_co_ci_u32_e32 v8, vcc_lo, s2, v16, vcc_lo
	v_add_co_u32 v15, vcc_lo, v7, s3
	v_add_co_ci_u32_e32 v16, vcc_lo, s2, v8, vcc_lo
	global_store_dwordx4 v[7:8], v[3:6], off
	global_load_dwordx4 v[3:6], v[17:18], off offset:1104
	v_add_co_u32 v17, vcc_lo, 0x1800, v1
	v_add_co_ci_u32_e32 v18, vcc_lo, 0, v2, vcc_lo
	s_waitcnt vmcnt(0) lgkmcnt(0)
	v_mul_f64 v[9:10], v[13:14], v[5:6]
	v_mul_f64 v[5:6], v[11:12], v[5:6]
	v_fma_f64 v[9:10], v[11:12], v[3:4], v[9:10]
	v_fma_f64 v[5:6], v[3:4], v[13:14], -v[5:6]
	v_mul_f64 v[3:4], v[9:10], s[0:1]
	v_mul_f64 v[5:6], v[5:6], s[0:1]
	global_store_dwordx4 v[15:16], v[3:6], off
	global_load_dwordx4 v[3:6], v[17:18], off offset:96
	ds_read_b128 v[7:10], v0 offset:6240
	ds_read_b128 v[11:14], v0 offset:7280
	s_waitcnt vmcnt(0) lgkmcnt(1)
	v_mul_f64 v[19:20], v[9:10], v[5:6]
	v_mul_f64 v[5:6], v[7:8], v[5:6]
	v_fma_f64 v[7:8], v[7:8], v[3:4], v[19:20]
	v_fma_f64 v[5:6], v[3:4], v[9:10], -v[5:6]
	v_mul_f64 v[3:4], v[7:8], s[0:1]
	v_mul_f64 v[5:6], v[5:6], s[0:1]
	v_add_co_u32 v7, vcc_lo, v15, s3
	v_add_co_ci_u32_e32 v8, vcc_lo, s2, v16, vcc_lo
	v_add_co_u32 v15, vcc_lo, v7, s3
	v_add_co_ci_u32_e32 v16, vcc_lo, s2, v8, vcc_lo
	global_store_dwordx4 v[7:8], v[3:6], off
	global_load_dwordx4 v[3:6], v[17:18], off offset:1136
	v_add_co_u32 v17, vcc_lo, 0x2000, v1
	v_add_co_ci_u32_e32 v18, vcc_lo, 0, v2, vcc_lo
	s_waitcnt vmcnt(0) lgkmcnt(0)
	v_mul_f64 v[9:10], v[13:14], v[5:6]
	v_mul_f64 v[5:6], v[11:12], v[5:6]
	v_fma_f64 v[9:10], v[11:12], v[3:4], v[9:10]
	v_fma_f64 v[5:6], v[3:4], v[13:14], -v[5:6]
	v_mul_f64 v[3:4], v[9:10], s[0:1]
	v_mul_f64 v[5:6], v[5:6], s[0:1]
	global_store_dwordx4 v[15:16], v[3:6], off
	global_load_dwordx4 v[3:6], v[17:18], off offset:128
	ds_read_b128 v[7:10], v0 offset:8320
	ds_read_b128 v[11:14], v0 offset:9360
	s_waitcnt vmcnt(0) lgkmcnt(1)
	v_mul_f64 v[19:20], v[9:10], v[5:6]
	v_mul_f64 v[5:6], v[7:8], v[5:6]
	v_fma_f64 v[7:8], v[7:8], v[3:4], v[19:20]
	v_fma_f64 v[5:6], v[3:4], v[9:10], -v[5:6]
	v_mul_f64 v[3:4], v[7:8], s[0:1]
	v_mul_f64 v[5:6], v[5:6], s[0:1]
	v_add_co_u32 v7, vcc_lo, v15, s3
	v_add_co_ci_u32_e32 v8, vcc_lo, s2, v16, vcc_lo
	v_add_co_u32 v15, vcc_lo, v7, s3
	v_add_co_ci_u32_e32 v16, vcc_lo, s2, v8, vcc_lo
	global_store_dwordx4 v[7:8], v[3:6], off
	global_load_dwordx4 v[3:6], v[17:18], off offset:1168
	v_add_co_u32 v17, vcc_lo, 0x2800, v1
	v_add_co_ci_u32_e32 v18, vcc_lo, 0, v2, vcc_lo
	s_waitcnt vmcnt(0) lgkmcnt(0)
	v_mul_f64 v[9:10], v[13:14], v[5:6]
	v_mul_f64 v[5:6], v[11:12], v[5:6]
	v_fma_f64 v[9:10], v[11:12], v[3:4], v[9:10]
	v_fma_f64 v[5:6], v[3:4], v[13:14], -v[5:6]
	v_mul_f64 v[3:4], v[9:10], s[0:1]
	v_mul_f64 v[5:6], v[5:6], s[0:1]
	global_store_dwordx4 v[15:16], v[3:6], off
	global_load_dwordx4 v[3:6], v[17:18], off offset:160
	ds_read_b128 v[7:10], v0 offset:10400
	ds_read_b128 v[11:14], v0 offset:11440
	s_waitcnt vmcnt(0) lgkmcnt(1)
	v_mul_f64 v[19:20], v[9:10], v[5:6]
	v_mul_f64 v[5:6], v[7:8], v[5:6]
	v_fma_f64 v[7:8], v[7:8], v[3:4], v[19:20]
	v_fma_f64 v[5:6], v[3:4], v[9:10], -v[5:6]
	v_mul_f64 v[3:4], v[7:8], s[0:1]
	v_mul_f64 v[5:6], v[5:6], s[0:1]
	v_add_co_u32 v7, vcc_lo, v15, s3
	v_add_co_ci_u32_e32 v8, vcc_lo, s2, v16, vcc_lo
	v_add_co_u32 v15, vcc_lo, v7, s3
	v_add_co_ci_u32_e32 v16, vcc_lo, s2, v8, vcc_lo
	global_store_dwordx4 v[7:8], v[3:6], off
	global_load_dwordx4 v[3:6], v[17:18], off offset:1200
	v_add_co_u32 v17, vcc_lo, 0x3000, v1
	v_add_co_ci_u32_e32 v18, vcc_lo, 0, v2, vcc_lo
	s_waitcnt vmcnt(0) lgkmcnt(0)
	v_mul_f64 v[9:10], v[13:14], v[5:6]
	v_mul_f64 v[5:6], v[11:12], v[5:6]
	v_fma_f64 v[9:10], v[11:12], v[3:4], v[9:10]
	v_fma_f64 v[5:6], v[3:4], v[13:14], -v[5:6]
	v_mul_f64 v[3:4], v[9:10], s[0:1]
	v_mul_f64 v[5:6], v[5:6], s[0:1]
	global_store_dwordx4 v[15:16], v[3:6], off
	global_load_dwordx4 v[3:6], v[17:18], off offset:192
	ds_read_b128 v[7:10], v0 offset:12480
	ds_read_b128 v[11:14], v0 offset:13520
	s_waitcnt vmcnt(0) lgkmcnt(1)
	v_mul_f64 v[19:20], v[9:10], v[5:6]
	v_mul_f64 v[5:6], v[7:8], v[5:6]
	v_fma_f64 v[7:8], v[7:8], v[3:4], v[19:20]
	v_fma_f64 v[5:6], v[3:4], v[9:10], -v[5:6]
	v_mul_f64 v[3:4], v[7:8], s[0:1]
	v_mul_f64 v[5:6], v[5:6], s[0:1]
	v_add_co_u32 v7, vcc_lo, v15, s3
	v_add_co_ci_u32_e32 v8, vcc_lo, s2, v16, vcc_lo
	v_add_co_u32 v15, vcc_lo, v7, s3
	v_add_co_ci_u32_e32 v16, vcc_lo, s2, v8, vcc_lo
	global_store_dwordx4 v[7:8], v[3:6], off
	global_load_dwordx4 v[3:6], v[17:18], off offset:1232
	v_add_co_u32 v17, vcc_lo, 0x3800, v1
	v_add_co_ci_u32_e32 v18, vcc_lo, 0, v2, vcc_lo
	s_waitcnt vmcnt(0) lgkmcnt(0)
	v_mul_f64 v[9:10], v[13:14], v[5:6]
	v_mul_f64 v[5:6], v[11:12], v[5:6]
	v_fma_f64 v[9:10], v[11:12], v[3:4], v[9:10]
	v_fma_f64 v[5:6], v[3:4], v[13:14], -v[5:6]
	v_mul_f64 v[3:4], v[9:10], s[0:1]
	v_mul_f64 v[5:6], v[5:6], s[0:1]
	global_store_dwordx4 v[15:16], v[3:6], off
	global_load_dwordx4 v[3:6], v[17:18], off offset:224
	ds_read_b128 v[7:10], v0 offset:14560
	ds_read_b128 v[11:14], v0 offset:15600
	s_waitcnt vmcnt(0) lgkmcnt(1)
	v_mul_f64 v[19:20], v[9:10], v[5:6]
	v_mul_f64 v[5:6], v[7:8], v[5:6]
	v_fma_f64 v[7:8], v[7:8], v[3:4], v[19:20]
	v_fma_f64 v[5:6], v[3:4], v[9:10], -v[5:6]
	v_mul_f64 v[3:4], v[7:8], s[0:1]
	v_mul_f64 v[5:6], v[5:6], s[0:1]
	v_add_co_u32 v7, vcc_lo, v15, s3
	v_add_co_ci_u32_e32 v8, vcc_lo, s2, v16, vcc_lo
	global_store_dwordx4 v[7:8], v[3:6], off
	global_load_dwordx4 v[3:6], v[17:18], off offset:1264
	s_waitcnt vmcnt(0) lgkmcnt(0)
	v_mul_f64 v[9:10], v[13:14], v[5:6]
	v_mul_f64 v[5:6], v[11:12], v[5:6]
	v_fma_f64 v[9:10], v[11:12], v[3:4], v[9:10]
	v_fma_f64 v[5:6], v[3:4], v[13:14], -v[5:6]
	v_mul_f64 v[3:4], v[9:10], s[0:1]
	v_mul_f64 v[5:6], v[5:6], s[0:1]
	v_add_co_u32 v9, vcc_lo, v7, s3
	v_add_co_ci_u32_e32 v10, vcc_lo, s2, v8, vcc_lo
	v_add_co_u32 v1, vcc_lo, 0x4000, v1
	v_add_co_ci_u32_e32 v2, vcc_lo, 0, v2, vcc_lo
	global_store_dwordx4 v[9:10], v[3:6], off
	global_load_dwordx4 v[1:4], v[1:2], off offset:256
	ds_read_b128 v[5:8], v0 offset:16640
	s_waitcnt vmcnt(0) lgkmcnt(0)
	v_mul_f64 v[11:12], v[7:8], v[3:4]
	v_mul_f64 v[3:4], v[5:6], v[3:4]
	v_fma_f64 v[5:6], v[5:6], v[1:2], v[11:12]
	v_fma_f64 v[2:3], v[1:2], v[7:8], -v[3:4]
	v_add_co_u32 v4, vcc_lo, v9, s3
	v_mul_f64 v[0:1], v[5:6], s[0:1]
	v_mul_f64 v[2:3], v[2:3], s[0:1]
	v_add_co_ci_u32_e32 v5, vcc_lo, s2, v10, vcc_lo
	global_store_dwordx4 v[4:5], v[0:3], off
.LBB0_23:
	s_endpgm
	.section	.rodata,"a",@progbits
	.p2align	6, 0x0
	.amdhsa_kernel bluestein_single_back_len1105_dim1_dp_op_CI_CI
		.amdhsa_group_segment_fixed_size 53040
		.amdhsa_private_segment_fixed_size 344
		.amdhsa_kernarg_size 104
		.amdhsa_user_sgpr_count 6
		.amdhsa_user_sgpr_private_segment_buffer 1
		.amdhsa_user_sgpr_dispatch_ptr 0
		.amdhsa_user_sgpr_queue_ptr 0
		.amdhsa_user_sgpr_kernarg_segment_ptr 1
		.amdhsa_user_sgpr_dispatch_id 0
		.amdhsa_user_sgpr_flat_scratch_init 0
		.amdhsa_user_sgpr_private_segment_size 0
		.amdhsa_wavefront_size32 1
		.amdhsa_uses_dynamic_stack 0
		.amdhsa_system_sgpr_private_segment_wavefront_offset 1
		.amdhsa_system_sgpr_workgroup_id_x 1
		.amdhsa_system_sgpr_workgroup_id_y 0
		.amdhsa_system_sgpr_workgroup_id_z 0
		.amdhsa_system_sgpr_workgroup_info 0
		.amdhsa_system_vgpr_workitem_id 0
		.amdhsa_next_free_vgpr 256
		.amdhsa_next_free_sgpr 64
		.amdhsa_reserve_vcc 1
		.amdhsa_reserve_flat_scratch 0
		.amdhsa_float_round_mode_32 0
		.amdhsa_float_round_mode_16_64 0
		.amdhsa_float_denorm_mode_32 3
		.amdhsa_float_denorm_mode_16_64 3
		.amdhsa_dx10_clamp 1
		.amdhsa_ieee_mode 1
		.amdhsa_fp16_overflow 0
		.amdhsa_workgroup_processor_mode 1
		.amdhsa_memory_ordered 1
		.amdhsa_forward_progress 0
		.amdhsa_shared_vgpr_count 0
		.amdhsa_exception_fp_ieee_invalid_op 0
		.amdhsa_exception_fp_denorm_src 0
		.amdhsa_exception_fp_ieee_div_zero 0
		.amdhsa_exception_fp_ieee_overflow 0
		.amdhsa_exception_fp_ieee_underflow 0
		.amdhsa_exception_fp_ieee_inexact 0
		.amdhsa_exception_int_div_zero 0
	.end_amdhsa_kernel
	.text
.Lfunc_end0:
	.size	bluestein_single_back_len1105_dim1_dp_op_CI_CI, .Lfunc_end0-bluestein_single_back_len1105_dim1_dp_op_CI_CI
                                        ; -- End function
	.section	.AMDGPU.csdata,"",@progbits
; Kernel info:
; codeLenInByte = 34044
; NumSgprs: 66
; NumVgprs: 256
; ScratchSize: 344
; MemoryBound: 0
; FloatMode: 240
; IeeeMode: 1
; LDSByteSize: 53040 bytes/workgroup (compile time only)
; SGPRBlocks: 8
; VGPRBlocks: 31
; NumSGPRsForWavesPerEU: 66
; NumVGPRsForWavesPerEU: 256
; Occupancy: 4
; WaveLimiterHint : 1
; COMPUTE_PGM_RSRC2:SCRATCH_EN: 1
; COMPUTE_PGM_RSRC2:USER_SGPR: 6
; COMPUTE_PGM_RSRC2:TRAP_HANDLER: 0
; COMPUTE_PGM_RSRC2:TGID_X_EN: 1
; COMPUTE_PGM_RSRC2:TGID_Y_EN: 0
; COMPUTE_PGM_RSRC2:TGID_Z_EN: 0
; COMPUTE_PGM_RSRC2:TIDIG_COMP_CNT: 0
	.text
	.p2alignl 6, 3214868480
	.fill 48, 4, 3214868480
	.type	__hip_cuid_89d18032c5f153ef,@object ; @__hip_cuid_89d18032c5f153ef
	.section	.bss,"aw",@nobits
	.globl	__hip_cuid_89d18032c5f153ef
__hip_cuid_89d18032c5f153ef:
	.byte	0                               ; 0x0
	.size	__hip_cuid_89d18032c5f153ef, 1

	.ident	"AMD clang version 19.0.0git (https://github.com/RadeonOpenCompute/llvm-project roc-6.4.0 25133 c7fe45cf4b819c5991fe208aaa96edf142730f1d)"
	.section	".note.GNU-stack","",@progbits
	.addrsig
	.addrsig_sym __hip_cuid_89d18032c5f153ef
	.amdgpu_metadata
---
amdhsa.kernels:
  - .args:
      - .actual_access:  read_only
        .address_space:  global
        .offset:         0
        .size:           8
        .value_kind:     global_buffer
      - .actual_access:  read_only
        .address_space:  global
        .offset:         8
        .size:           8
        .value_kind:     global_buffer
      - .actual_access:  read_only
        .address_space:  global
        .offset:         16
        .size:           8
        .value_kind:     global_buffer
      - .actual_access:  read_only
        .address_space:  global
        .offset:         24
        .size:           8
        .value_kind:     global_buffer
      - .actual_access:  read_only
        .address_space:  global
        .offset:         32
        .size:           8
        .value_kind:     global_buffer
      - .offset:         40
        .size:           8
        .value_kind:     by_value
      - .address_space:  global
        .offset:         48
        .size:           8
        .value_kind:     global_buffer
      - .address_space:  global
        .offset:         56
        .size:           8
        .value_kind:     global_buffer
      - .address_space:  global
        .offset:         64
        .size:           8
        .value_kind:     global_buffer
      - .address_space:  global
        .offset:         72
        .size:           8
        .value_kind:     global_buffer
      - .offset:         80
        .size:           4
        .value_kind:     by_value
      - .address_space:  global
        .offset:         88
        .size:           8
        .value_kind:     global_buffer
      - .address_space:  global
        .offset:         96
        .size:           8
        .value_kind:     global_buffer
    .group_segment_fixed_size: 53040
    .kernarg_segment_align: 8
    .kernarg_segment_size: 104
    .language:       OpenCL C
    .language_version:
      - 2
      - 0
    .max_flat_workgroup_size: 255
    .name:           bluestein_single_back_len1105_dim1_dp_op_CI_CI
    .private_segment_fixed_size: 344
    .sgpr_count:     66
    .sgpr_spill_count: 0
    .symbol:         bluestein_single_back_len1105_dim1_dp_op_CI_CI.kd
    .uniform_work_group_size: 1
    .uses_dynamic_stack: false
    .vgpr_count:     256
    .vgpr_spill_count: 115
    .wavefront_size: 32
    .workgroup_processor_mode: 1
amdhsa.target:   amdgcn-amd-amdhsa--gfx1030
amdhsa.version:
  - 1
  - 2
...

	.end_amdgpu_metadata
